;; amdgpu-corpus repo=ROCm/rocFFT kind=compiled arch=gfx1030 opt=O3
	.text
	.amdgcn_target "amdgcn-amd-amdhsa--gfx1030"
	.amdhsa_code_object_version 6
	.protected	fft_rtc_fwd_len4096_factors_8_16_4_8_wgs_256_tpt_128_halfLds_dim1_sp_op_CI_CI_unitstride_sbrr_dirReg ; -- Begin function fft_rtc_fwd_len4096_factors_8_16_4_8_wgs_256_tpt_128_halfLds_dim1_sp_op_CI_CI_unitstride_sbrr_dirReg
	.globl	fft_rtc_fwd_len4096_factors_8_16_4_8_wgs_256_tpt_128_halfLds_dim1_sp_op_CI_CI_unitstride_sbrr_dirReg
	.p2align	8
	.type	fft_rtc_fwd_len4096_factors_8_16_4_8_wgs_256_tpt_128_halfLds_dim1_sp_op_CI_CI_unitstride_sbrr_dirReg,@function
fft_rtc_fwd_len4096_factors_8_16_4_8_wgs_256_tpt_128_halfLds_dim1_sp_op_CI_CI_unitstride_sbrr_dirReg: ; @fft_rtc_fwd_len4096_factors_8_16_4_8_wgs_256_tpt_128_halfLds_dim1_sp_op_CI_CI_unitstride_sbrr_dirReg
; %bb.0:
	s_clause 0x1
	s_load_dwordx2 s[0:1], s[4:5], 0x20
	s_load_dwordx2 s[2:3], s[4:5], 0x0
	v_lshrrev_b32_e32 v98, 7, v0
	v_mov_b32_e32 v2, 0
	v_and_b32_e32 v66, 0x7f, v0
	v_or_b32_e32 v72, 0x380, v0
	v_or_b32_e32 v71, 0x780, v0
	v_lshl_or_b32 v1, s6, 1, v98
	v_or_b32_e32 v70, 0xb80, v0
	v_or_b32_e32 v69, 0xf80, v0
                                        ; implicit-def: $sgpr6_sgpr7
                                        ; implicit-def: $vgpr68
                                        ; implicit-def: $vgpr67
                                        ; implicit-def: $vgpr85
                                        ; implicit-def: $vgpr73
                                        ; implicit-def: $vgpr80
                                        ; implicit-def: $vgpr88
                                        ; implicit-def: $vgpr74
                                        ; implicit-def: $vgpr81
                                        ; implicit-def: $vgpr89
                                        ; implicit-def: $vgpr95
                                        ; implicit-def: $vgpr75
                                        ; implicit-def: $vgpr82
                                        ; implicit-def: $vgpr90
                                        ; implicit-def: $vgpr76
                                        ; implicit-def: $vgpr83
                                        ; implicit-def: $vgpr91
                                        ; implicit-def: $vgpr96
                                        ; implicit-def: $vgpr77
                                        ; implicit-def: $vgpr84
                                        ; implicit-def: $vgpr92
                                        ; implicit-def: $vgpr78
                                        ; implicit-def: $vgpr86
                                        ; implicit-def: $vgpr93
                                        ; implicit-def: $vgpr97
                                        ; implicit-def: $vgpr79
                                        ; implicit-def: $vgpr87
                                        ; implicit-def: $vgpr94
	s_waitcnt lgkmcnt(0)
	v_cmp_gt_u64_e32 vcc_lo, s[0:1], v[1:2]
	v_cmp_le_u64_e64 s0, s[0:1], v[1:2]
	s_and_saveexec_b32 s1, s0
	s_xor_b32 s0, exec_lo, s1
	s_cbranch_execz .LBB0_2
; %bb.1:
	v_and_b32_e32 v66, 0x7f, v0
	v_or_b32_e32 v72, 0x380, v0
	v_or_b32_e32 v71, 0x780, v0
	;; [unrolled: 1-line block ×31, first 2 shown]
	s_mov_b64 s[6:7], 0
.LBB0_2:
	s_or_saveexec_b32 s8, s0
	v_mov_b32_e32 v43, s7
	v_mov_b32_e32 v42, s6
	s_load_dwordx2 s[6:7], s[4:5], 0x18
                                        ; implicit-def: $vgpr63
                                        ; implicit-def: $vgpr59
                                        ; implicit-def: $vgpr65
                                        ; implicit-def: $vgpr61
                                        ; implicit-def: $vgpr51
                                        ; implicit-def: $vgpr45
                                        ; implicit-def: $vgpr49
                                        ; implicit-def: $vgpr33
                                        ; implicit-def: $vgpr29
                                        ; implicit-def: $vgpr31
                                        ; implicit-def: $vgpr27
                                        ; implicit-def: $vgpr17
                                        ; implicit-def: $vgpr11
                                        ; implicit-def: $vgpr15
                                        ; implicit-def: $vgpr13
                                        ; implicit-def: $vgpr47
	v_mov_b32_e32 v57, v43
	v_mov_b32_e32 v55, v43
	;; [unrolled: 1-line block ×30, first 2 shown]
	s_xor_b32 exec_lo, exec_lo, s8
	s_cbranch_execz .LBB0_4
; %bb.3:
	s_clause 0x1
	s_load_dwordx2 s[10:11], s[4:5], 0x10
	s_load_dwordx2 s[0:1], s[4:5], 0x50
	v_or_b32_e32 v73, 0x200, v66
	v_lshlrev_b32_e32 v5, 3, v66
	v_or_b32_e32 v74, 0x400, v66
	v_or_b32_e32 v75, 0x600, v66
	v_or_b32_e32 v76, 0x800, v66
	v_or_b32_e32 v77, 0xa00, v66
	v_or_b32_e32 v78, 0xc00, v66
	v_lshlrev_b32_e32 v6, 3, v74
	v_lshlrev_b32_e32 v8, 3, v75
	;; [unrolled: 1-line block ×4, first 2 shown]
	v_or_b32_e32 v79, 0xe00, v66
	v_lshlrev_b32_e32 v14, 3, v78
	v_or_b32_e32 v80, 0x280, v66
	v_or_b32_e32 v81, 0x480, v66
	;; [unrolled: 1-line block ×3, first 2 shown]
	v_lshlrev_b32_e32 v16, 3, v79
	v_or_b32_e32 v83, 0x880, v66
	s_waitcnt lgkmcnt(0)
	s_load_dwordx2 s[10:11], s[10:11], 0x8
	v_lshlrev_b32_e32 v18, 3, v80
	v_lshlrev_b32_e32 v20, 3, v81
	;; [unrolled: 1-line block ×3, first 2 shown]
	v_or_b32_e32 v84, 0xa80, v66
	v_lshlrev_b32_e32 v24, 3, v83
	v_or_b32_e32 v86, 0xc80, v66
	v_or_b32_e32 v87, 0xe80, v66
	;; [unrolled: 1-line block ×3, first 2 shown]
	v_lshlrev_b32_e32 v26, 3, v84
	v_or_b32_e32 v88, 0x300, v66
	v_lshlrev_b32_e32 v28, 3, v86
	v_lshlrev_b32_e32 v30, 3, v87
	;; [unrolled: 1-line block ×3, first 2 shown]
	v_or_b32_e32 v89, 0x500, v66
	v_lshlrev_b32_e32 v36, 3, v88
	v_or_b32_e32 v90, 0x700, v66
	v_or_b32_e32 v91, 0x900, v66
	;; [unrolled: 1-line block ×3, first 2 shown]
	v_lshlrev_b32_e32 v37, 3, v89
	s_waitcnt lgkmcnt(0)
	v_mad_u64_u32 v[2:3], null, s10, v1, 0
	v_or_b32_e32 v93, 0xd00, v66
	v_or_b32_e32 v94, 0xf00, v66
	;; [unrolled: 1-line block ×6, first 2 shown]
	v_mad_u64_u32 v[3:4], null, s11, v1, v[3:4]
	v_lshlrev_b32_e32 v4, 3, v73
	v_or_b32_e32 v68, 0x80, v66
	v_lshlrev_b64 v[2:3], 3, v[2:3]
	v_add_co_u32 v34, s0, s0, v2
	v_add_co_ci_u32_e64 v35, s0, s1, v3, s0
	v_add_co_u32 v2, s0, v34, v5
	v_add_co_ci_u32_e64 v3, s0, 0, v35, s0
	;; [unrolled: 2-line block ×17, first 2 shown]
	v_add_co_u32 v99, s0, v34, v36
	v_lshlrev_b32_e32 v36, 3, v90
	v_add_co_ci_u32_e64 v100, s0, 0, v35, s0
	v_add_co_u32 v101, s0, v34, v37
	v_lshlrev_b32_e32 v37, 3, v91
	v_add_co_ci_u32_e64 v102, s0, 0, v35, s0
	;; [unrolled: 3-line block ×13, first 2 shown]
	v_add_co_u32 v125, s0, v34, v37
	v_add_co_ci_u32_e64 v126, s0, 0, v35, s0
	v_add_co_u32 v127, s0, v34, v36
	v_add_co_ci_u32_e64 v128, s0, 0, v35, s0
	s_clause 0x1f
	global_load_dwordx2 v[52:53], v[8:9], off
	global_load_dwordx2 v[62:63], v[10:11], off
	;; [unrolled: 1-line block ×7, first 2 shown]
	global_load_dwordx2 v[38:39], v[2:3], off offset:1024
	global_load_dwordx2 v[60:61], v[16:17], off
	global_load_dwordx2 v[36:37], v[18:19], off
	;; [unrolled: 1-line block ×24, first 2 shown]
.LBB0_4:
	s_or_b32 exec_lo, exec_lo, s8
	s_waitcnt vmcnt(27)
	v_sub_f32_e32 v62, v42, v62
	s_waitcnt vmcnt(26)
	v_sub_f32_e32 v64, v56, v64
	v_sub_f32_e32 v65, v57, v65
	s_waitcnt vmcnt(25)
	v_sub_f32_e32 v58, v54, v58
	s_waitcnt vmcnt(23)
	v_sub_f32_e32 v60, v52, v60
	v_sub_f32_e32 v63, v43, v63
	v_fma_f32 v42, v42, 2.0, -v62
	v_fma_f32 v56, v56, 2.0, -v64
	v_sub_f32_e32 v59, v55, v59
	v_fma_f32 v57, v57, 2.0, -v65
	v_fma_f32 v54, v54, 2.0, -v58
	v_sub_f32_e32 v61, v53, v61
	v_fma_f32 v52, v52, 2.0, -v60
	v_sub_f32_e32 v65, v62, v65
	;; [unrolled: 2-line block ×3, first 2 shown]
	v_fma_f32 v53, v53, 2.0, -v61
	v_add_f32_e32 v101, v64, v63
	v_sub_f32_e32 v102, v58, v61
	v_fma_f32 v61, v62, 2.0, -v65
	v_sub_f32_e32 v62, v54, v52
	v_add_f32_e32 v103, v60, v59
	v_fma_f32 v55, v55, 2.0, -v59
	v_sub_f32_e32 v100, v43, v57
	v_fma_f32 v56, v42, 2.0, -v99
	v_fma_f32 v58, v58, 2.0, -v102
	v_fma_f32 v63, v63, 2.0, -v101
	v_fma_f32 v42, v54, 2.0, -v62
	v_fma_f32 v54, v59, 2.0, -v103
	v_fma_f32 v57, v43, 2.0, -v100
	v_sub_f32_e32 v60, v55, v53
	v_fmamk_f32 v43, v58, 0xbf3504f3, v61
	v_fmamk_f32 v59, v102, 0x3f3504f3, v65
	;; [unrolled: 1-line block ×3, first 2 shown]
	s_waitcnt vmcnt(19)
	v_sub_f32_e32 v50, v38, v50
	v_fma_f32 v52, v55, 2.0, -v60
	v_fmac_f32_e32 v43, 0xbf3504f3, v54
	v_sub_f32_e32 v51, v39, v51
	v_fmac_f32_e32 v53, 0x3f3504f3, v58
	v_sub_f32_e32 v58, v99, v60
	v_add_f32_e32 v60, v100, v62
	s_waitcnt vmcnt(17)
	v_sub_f32_e32 v48, v40, v48
	v_sub_f32_e32 v49, v41, v49
	;; [unrolled: 1-line block ×4, first 2 shown]
	s_waitcnt vmcnt(16)
	v_sub_f32_e32 v46, v34, v46
	v_sub_f32_e32 v47, v35, v47
	v_fma_f32 v55, v61, 2.0, -v43
	v_fmamk_f32 v61, v103, 0x3f3504f3, v101
	v_fma_f32 v64, v100, 2.0, -v60
	v_fmac_f32_e32 v59, 0xbf3504f3, v103
	v_fma_f32 v38, v38, 2.0, -v50
	v_fma_f32 v39, v39, 2.0, -v51
	;; [unrolled: 1-line block ×8, first 2 shown]
	v_sub_f32_e32 v100, v50, v49
	v_sub_f32_e32 v103, v44, v47
	v_fma_f32 v62, v99, 2.0, -v58
	v_fmac_f32_e32 v61, 0x3f3504f3, v102
	v_sub_f32_e32 v99, v38, v40
	v_sub_f32_e32 v41, v39, v41
	v_add_f32_e32 v102, v48, v51
	v_fma_f32 v47, v50, 2.0, -v100
	v_sub_f32_e32 v48, v36, v34
	v_add_f32_e32 v104, v46, v45
	v_sub_f32_e32 v46, v37, v35
	v_fma_f32 v44, v44, 2.0, -v103
	v_fma_f32 v40, v38, 2.0, -v99
	;; [unrolled: 1-line block ×7, first 2 shown]
	v_fmamk_f32 v35, v44, 0xbf3504f3, v47
	s_waitcnt vmcnt(11)
	v_sub_f32_e32 v32, v22, v32
	v_sub_f32_e32 v34, v40, v34
	v_fmamk_f32 v38, v36, 0xbf3504f3, v50
	v_sub_f32_e32 v37, v49, v37
	v_fmac_f32_e32 v35, 0xbf3504f3, v36
	v_sub_f32_e32 v33, v23, v33
	s_waitcnt vmcnt(9)
	v_sub_f32_e32 v31, v25, v31
	v_fma_f32 v39, v40, 2.0, -v34
	v_fmac_f32_e32 v38, 0x3f3504f3, v44
	v_fma_f32 v44, v49, 2.0, -v37
	v_fma_f32 v40, v47, 2.0, -v35
	v_sub_f32_e32 v46, v99, v46
	v_add_f32_e32 v48, v41, v48
	v_fmamk_f32 v47, v103, 0x3f3504f3, v100
	v_fmamk_f32 v49, v104, 0x3f3504f3, v102
	v_sub_f32_e32 v30, v24, v30
	v_sub_f32_e32 v28, v20, v28
	v_fma_f32 v23, v23, 2.0, -v33
	v_sub_f32_e32 v29, v21, v29
	v_fma_f32 v25, v25, 2.0, -v31
	s_waitcnt vmcnt(8)
	v_sub_f32_e32 v26, v18, v26
	v_sub_f32_e32 v27, v19, v27
	;; [unrolled: 1-line block ×3, first 2 shown]
	v_fma_f32 v45, v50, 2.0, -v38
	v_fma_f32 v50, v99, 2.0, -v46
	;; [unrolled: 1-line block ×3, first 2 shown]
	v_fmac_f32_e32 v47, 0xbf3504f3, v104
	v_fmac_f32_e32 v49, 0x3f3504f3, v103
	v_fma_f32 v22, v22, 2.0, -v32
	v_fma_f32 v24, v24, 2.0, -v30
	;; [unrolled: 1-line block ×4, first 2 shown]
	v_sub_f32_e32 v41, v23, v25
	v_fma_f32 v18, v18, 2.0, -v26
	v_fma_f32 v19, v19, 2.0, -v27
	v_add_f32_e32 v103, v30, v33
	v_sub_f32_e32 v104, v28, v27
	v_fma_f32 v25, v32, 2.0, -v31
	v_add_f32_e32 v32, v26, v29
	v_sub_f32_e32 v36, v22, v24
	v_sub_f32_e32 v27, v20, v18
	;; [unrolled: 1-line block ×3, first 2 shown]
	v_fma_f32 v24, v28, 2.0, -v104
	v_fma_f32 v30, v33, 2.0, -v103
	;; [unrolled: 1-line block ×6, first 2 shown]
	v_fmamk_f32 v19, v24, 0xbf3504f3, v25
	v_fmamk_f32 v21, v28, 0xbf3504f3, v30
	s_waitcnt vmcnt(3)
	v_sub_f32_e32 v17, v7, v17
	s_waitcnt vmcnt(1)
	v_sub_f32_e32 v15, v9, v15
	v_sub_f32_e32 v20, v23, v20
	v_fmac_f32_e32 v19, 0xbf3504f3, v28
	v_fmac_f32_e32 v21, 0x3f3504f3, v24
	v_sub_f32_e32 v26, v36, v26
	v_fmamk_f32 v29, v32, 0x3f3504f3, v103
	v_sub_f32_e32 v16, v6, v16
	v_sub_f32_e32 v10, v4, v10
	v_fma_f32 v7, v7, 2.0, -v17
	v_fma_f32 v9, v9, 2.0, -v15
	s_waitcnt vmcnt(0)
	v_sub_f32_e32 v12, v2, v12
	v_sub_f32_e32 v13, v3, v13
	;; [unrolled: 1-line block ×4, first 2 shown]
	v_fma_f32 v22, v22, 2.0, -v36
	v_fma_f32 v24, v23, 2.0, -v20
	v_fma_f32 v23, v25, 2.0, -v19
	v_add_f32_e32 v28, v41, v27
	v_fma_f32 v25, v30, 2.0, -v21
	v_fmamk_f32 v27, v104, 0x3f3504f3, v31
	v_fma_f32 v30, v36, 2.0, -v26
	v_fmac_f32_e32 v29, 0x3f3504f3, v104
	v_sub_f32_e32 v14, v8, v14
	v_sub_f32_e32 v11, v5, v11
	v_fma_f32 v4, v4, 2.0, -v10
	v_sub_f32_e32 v33, v7, v9
	v_fma_f32 v2, v2, 2.0, -v12
	v_sub_f32_e32 v36, v16, v15
	v_sub_f32_e32 v104, v10, v13
	v_fma_f32 v54, v56, 2.0, -v42
	v_fma_f32 v56, v57, 2.0, -v52
	;; [unrolled: 1-line block ×11, first 2 shown]
	v_add_f32_e32 v41, v14, v17
	v_fma_f32 v13, v16, 2.0, -v36
	v_add_f32_e32 v15, v12, v11
	v_sub_f32_e32 v16, v4, v2
	v_fma_f32 v7, v10, 2.0, -v104
	v_fmac_f32_e32 v27, 0xbf3504f3, v32
	v_sub_f32_e32 v32, v6, v8
	v_sub_f32_e32 v2, v5, v3
	v_fma_f32 v10, v17, 2.0, -v41
	v_fma_f32 v11, v11, 2.0, -v15
	;; [unrolled: 1-line block ×3, first 2 shown]
	v_fmamk_f32 v4, v7, 0xbf3504f3, v13
	v_lshlrev_b32_e32 v17, 14, v98
	v_fma_f32 v8, v6, 2.0, -v32
	v_fma_f32 v5, v5, 2.0, -v2
	v_fmamk_f32 v6, v11, 0xbf3504f3, v10
	v_fmac_f32_e32 v4, 0xbf3504f3, v11
	v_fmamk_f32 v12, v104, 0x3f3504f3, v36
	v_sub_f32_e32 v11, v32, v2
	v_add_nc_u32_e32 v2, 0, v17
	v_sub_f32_e32 v18, v22, v18
	v_sub_f32_e32 v3, v8, v3
	v_fmac_f32_e32 v12, 0xbf3504f3, v15
	v_fma_f32 v51, v100, 2.0, -v47
	v_lshl_add_u32 v98, v66, 5, v2
	v_lshl_add_u32 v117, v68, 5, v2
	;; [unrolled: 1-line block ×3, first 2 shown]
	s_waitcnt lgkmcnt(0)
	s_load_dwordx2 s[0:1], s[6:7], 0x8
	v_fma_f32 v22, v22, 2.0, -v18
	v_fma_f32 v31, v31, 2.0, -v27
	v_fmac_f32_e32 v6, 0x3f3504f3, v7
	v_fma_f32 v7, v8, 2.0, -v3
	v_fma_f32 v8, v13, 2.0, -v4
	v_fmamk_f32 v14, v15, 0x3f3504f3, v41
	v_add_f32_e32 v13, v33, v16
	v_fma_f32 v15, v32, 2.0, -v11
	v_fma_f32 v16, v36, 2.0, -v12
	ds_write2_b64 v98, v[54:55], v[62:63] offset1:1
	ds_write2_b64 v98, v[42:43], v[58:59] offset0:2 offset1:3
	ds_write2_b64 v117, v[39:40], v[50:51] offset1:1
	v_lshl_add_u32 v43, v85, 5, v2
	ds_write2_b64 v117, v[34:35], v[46:47] offset0:2 offset1:3
	ds_write2_b64 v118, v[22:23], v[30:31] offset1:1
	v_lshlrev_b32_e32 v22, 2, v66
	ds_write2_b64 v118, v[18:19], v[26:27] offset0:2 offset1:3
	ds_write2_b64 v43, v[7:8], v[15:16] offset1:1
	ds_write2_b64 v43, v[3:4], v[11:12] offset0:2 offset1:3
	v_and_b32_e32 v3, 7, v0
	v_sub_f32_e32 v5, v9, v5
	v_fmac_f32_e32 v14, 0x3f3504f3, v104
	v_fma_f32 v100, v102, 2.0, -v49
	v_fma_f32 v102, v103, 2.0, -v29
	;; [unrolled: 1-line block ×3, first 2 shown]
	v_add3_u32 v33, 0, v22, v17
	v_mul_u32_u24_e32 v7, 15, v3
	v_add_nc_u32_e32 v34, v2, v22
	v_mad_i32_i24 v32, 0xffffffe4, v67, v118
	v_fma_f32 v9, v9, 2.0, -v5
	v_fma_f32 v10, v10, 2.0, -v6
	;; [unrolled: 1-line block ×3, first 2 shown]
	v_lshl_add_u32 v35, v68, 2, v2
	v_mad_i32_i24 v36, 0xffffffe4, v85, v43
	s_waitcnt lgkmcnt(0)
	s_barrier
	buffer_gl0_inv
	ds_read2st64_b32 v[30:31], v33 offset0:8 offset1:10
	ds_read2st64_b32 v[39:40], v33 offset0:12 offset1:14
	;; [unrolled: 1-line block ×14, first 2 shown]
	ds_read_b32 v119, v34
	ds_read_b32 v120, v32
	;; [unrolled: 1-line block ×4, first 2 shown]
	s_waitcnt lgkmcnt(0)
	s_barrier
	buffer_gl0_inv
	ds_write2_b64 v98, v[56:57], v[64:65] offset1:1
	ds_write2_b64 v98, v[52:53], v[60:61] offset0:2 offset1:3
	ds_write2_b64 v117, v[44:45], v[99:100] offset1:1
	ds_write2_b64 v117, v[37:38], v[48:49] offset0:2 offset1:3
	;; [unrolled: 2-line block ×3, first 2 shown]
	ds_write2_b64 v43, v[9:10], v[103:104] offset1:1
	v_lshlrev_b32_e32 v29, 3, v7
	ds_write2_b64 v43, v[5:6], v[13:14] offset0:2 offset1:3
	s_waitcnt lgkmcnt(0)
	s_barrier
	buffer_gl0_inv
	s_clause 0x4
	global_load_dwordx4 v[5:8], v29, s[2:3] offset:16
	global_load_dwordx4 v[9:12], v29, s[2:3] offset:32
	;; [unrolled: 1-line block ×5, first 2 shown]
	ds_read2st64_b32 v[37:38], v33 offset0:12 offset1:14
	ds_read2st64_b32 v[43:44], v33 offset0:16 offset1:18
	ds_read2st64_b32 v[48:49], v33 offset0:20 offset1:22
	global_load_dwordx4 v[25:28], v29, s[2:3]
	v_lshlrev_b32_e32 v0, 4, v0
	v_lshl_add_u32 v73, v73, 2, v2
	v_lshl_add_u32 v80, v80, 2, v2
	;; [unrolled: 1-line block ×4, first 2 shown]
	v_and_or_b32 v0, 0x780, v0, v3
	v_lshl_add_u32 v76, v76, 2, v2
	v_lshl_add_u32 v70, v70, 2, v2
	;; [unrolled: 1-line block ×8, first 2 shown]
	s_waitcnt vmcnt(5) lgkmcnt(2)
	v_mul_f32_e32 v45, v37, v6
	v_mul_f32_e32 v52, v38, v6
	;; [unrolled: 1-line block ×4, first 2 shown]
	s_waitcnt lgkmcnt(1)
	v_mul_f32_e32 v6, v43, v8
	v_fma_f32 v45, v39, v5, -v45
	v_fma_f32 v52, v40, v5, -v52
	v_fmac_f32_e32 v53, v37, v5
	v_fmac_f32_e32 v56, v38, v5
	v_mul_f32_e32 v5, v44, v8
	v_mul_f32_e32 v37, v41, v8
	v_fma_f32 v38, v41, v7, -v6
	s_waitcnt vmcnt(4) lgkmcnt(0)
	v_mul_f32_e32 v6, v49, v10
	ds_read2st64_b32 v[39:40], v33 offset0:24 offset1:26
	v_fma_f32 v41, v42, v7, -v5
	v_mul_f32_e32 v42, v42, v8
	v_mul_f32_e32 v5, v48, v10
	v_fmac_f32_e32 v37, v43, v7
	v_mul_f32_e32 v43, v46, v10
	s_waitcnt vmcnt(3)
	v_mul_f32_e32 v57, v54, v14
	v_fmac_f32_e32 v42, v44, v7
	v_mul_f32_e32 v44, v47, v10
	v_fma_f32 v46, v46, v9, -v5
	v_fma_f32 v47, v47, v9, -v6
	global_load_dwordx4 v[5:8], v29, s[2:3] offset:96
	v_fmac_f32_e32 v43, v48, v9
	v_fmac_f32_e32 v44, v49, v9
	v_mul_f32_e32 v48, v50, v12
	s_waitcnt vmcnt(2)
	v_mul_f32_e32 v98, v109, v24
	s_waitcnt vmcnt(1)
	v_mul_f32_e32 v104, v120, v26
	s_waitcnt lgkmcnt(0)
	v_mul_f32_e32 v10, v39, v12
	v_mul_f32_e32 v9, v40, v12
	v_fmac_f32_e32 v48, v39, v11
	v_fma_f32 v49, v50, v11, -v10
	v_fma_f32 v50, v51, v11, -v9
	v_mul_f32_e32 v51, v51, v12
	v_fmac_f32_e32 v51, v40, v11
	ds_read2st64_b32 v[9:10], v33 offset0:28 offset1:30
	ds_read2st64_b32 v[11:12], v33 offset0:32 offset1:34
	s_waitcnt lgkmcnt(1)
	v_mul_f32_e32 v39, v9, v14
	v_mul_f32_e32 v40, v10, v14
	v_fmac_f32_e32 v57, v9, v13
	s_waitcnt lgkmcnt(0)
	v_mul_f32_e32 v9, v12, v16
	v_fma_f32 v39, v54, v13, -v39
	v_fma_f32 v40, v55, v13, -v40
	v_mul_f32_e32 v54, v55, v14
	v_mul_f32_e32 v14, v11, v16
	;; [unrolled: 1-line block ×4, first 2 shown]
	v_fma_f32 v60, v59, v15, -v9
	v_fmac_f32_e32 v54, v10, v13
	v_fma_f32 v58, v58, v15, -v14
	v_fmac_f32_e32 v55, v11, v15
	v_fmac_f32_e32 v16, v12, v15
	ds_read2st64_b32 v[9:10], v33 offset0:36 offset1:38
	ds_read2st64_b32 v[11:12], v33 offset0:40 offset1:42
	v_mul_f32_e32 v15, v62, v18
	v_sub_f32_e32 v58, v119, v58
	s_waitcnt lgkmcnt(1)
	v_mul_f32_e32 v13, v9, v18
	v_mul_f32_e32 v14, v10, v18
	;; [unrolled: 1-line block ×3, first 2 shown]
	v_fmac_f32_e32 v15, v9, v17
	s_waitcnt lgkmcnt(0)
	v_mul_f32_e32 v9, v12, v20
	v_fma_f32 v59, v62, v17, -v13
	v_fma_f32 v61, v63, v17, -v14
	v_mul_f32_e32 v13, v11, v20
	v_fmac_f32_e32 v18, v10, v17
	v_mul_f32_e32 v17, v105, v20
	v_mul_f32_e32 v20, v106, v20
	v_fma_f32 v63, v106, v19, -v9
	v_fma_f32 v62, v105, v19, -v13
	v_fmac_f32_e32 v17, v11, v19
	v_fmac_f32_e32 v20, v12, v19
	ds_read2st64_b32 v[9:10], v33 offset0:44 offset1:46
	ds_read2st64_b32 v[11:12], v33 offset0:48 offset1:50
	v_mul_f32_e32 v19, v107, v22
	s_waitcnt lgkmcnt(1)
	v_mul_f32_e32 v13, v9, v22
	v_mul_f32_e32 v14, v10, v22
	;; [unrolled: 1-line block ×3, first 2 shown]
	v_fmac_f32_e32 v19, v9, v21
	s_waitcnt lgkmcnt(0)
	v_mul_f32_e32 v9, v12, v24
	v_fma_f32 v64, v107, v21, -v13
	v_mul_f32_e32 v13, v11, v24
	v_fmac_f32_e32 v22, v10, v21
	v_mul_f32_e32 v24, v110, v24
	v_fma_f32 v99, v110, v23, -v9
	global_load_dwordx2 v[9:10], v29, s[2:3] offset:112
	v_fmac_f32_e32 v98, v11, v23
	v_fma_f32 v65, v108, v21, -v14
	v_fmac_f32_e32 v24, v12, v23
	ds_read2st64_b32 v[11:12], v33 offset0:52 offset1:54
	v_fma_f32 v21, v109, v23, -v13
	v_sub_f32_e32 v64, v45, v64
	v_sub_f32_e32 v19, v53, v19
	;; [unrolled: 1-line block ×5, first 2 shown]
	v_fma_f32 v45, v45, 2.0, -v64
	v_fma_f32 v53, v53, 2.0, -v19
	;; [unrolled: 1-line block ×5, first 2 shown]
	s_waitcnt vmcnt(1) lgkmcnt(0)
	v_mul_f32_e32 v13, v11, v6
	v_mul_f32_e32 v14, v12, v6
	;; [unrolled: 1-line block ×5, first 2 shown]
	v_fma_f32 v23, v111, v5, -v13
	v_fma_f32 v100, v112, v5, -v14
	ds_read2st64_b32 v[13:14], v33 offset0:56 offset1:58
	v_fmac_f32_e32 v29, v11, v5
	v_fmac_f32_e32 v101, v12, v5
	v_sub_f32_e32 v23, v46, v23
	v_sub_f32_e32 v29, v43, v29
	v_fma_f32 v46, v46, 2.0, -v23
	v_fma_f32 v43, v43, 2.0, -v29
	s_waitcnt lgkmcnt(0)
	v_mul_f32_e32 v5, v13, v8
	v_mul_f32_e32 v6, v14, v8
	v_mul_f32_e32 v8, v114, v8
	v_fmac_f32_e32 v102, v13, v7
	v_fma_f32 v11, v113, v7, -v5
	v_fma_f32 v12, v114, v7, -v6
	v_fmac_f32_e32 v8, v14, v7
	ds_read2st64_b32 v[5:6], v33 offset0:8 offset1:10
	ds_read_b32 v7, v32
	v_sub_f32_e32 v11, v49, v11
	v_sub_f32_e32 v12, v50, v12
	;; [unrolled: 1-line block ×3, first 2 shown]
	v_fma_f32 v49, v49, 2.0, -v11
	v_fma_f32 v50, v50, 2.0, -v12
	;; [unrolled: 1-line block ×3, first 2 shown]
	s_waitcnt lgkmcnt(1)
	v_mul_f32_e32 v13, v5, v28
	v_mul_f32_e32 v14, v6, v28
	s_waitcnt lgkmcnt(0)
	v_fmac_f32_e32 v104, v7, v25
	v_fma_f32 v13, v30, v27, -v13
	v_mul_f32_e32 v30, v30, v28
	v_mul_f32_e32 v28, v31, v28
	v_fma_f32 v14, v31, v27, -v14
	v_sub_f32_e32 v15, v104, v15
	v_fmac_f32_e32 v30, v5, v27
	v_mul_f32_e32 v5, v7, v26
	v_fmac_f32_e32 v28, v6, v27
	ds_read_b32 v27, v35
	ds_read_b32 v31, v34
	v_add_f32_e32 v23, v15, v23
	v_sub_f32_e32 v17, v30, v17
	v_fma_f32 v103, v120, v25, -v5
	ds_read_b32 v5, v36
	v_sub_f32_e32 v20, v28, v20
	v_fma_f32 v30, v30, 2.0, -v17
	v_sub_f32_e32 v59, v103, v59
	v_add_f32_e32 v11, v17, v11
	v_fma_f32 v28, v28, 2.0, -v20
	v_add_f32_e32 v12, v20, v12
	v_sub_f32_e32 v29, v59, v29
	v_fma_f32 v17, v17, 2.0, -v11
	v_sub_f32_e32 v51, v28, v51
	v_fma_f32 v20, v20, 2.0, -v12
	s_waitcnt lgkmcnt(2)
	v_sub_f32_e32 v16, v27, v16
	v_fma_f32 v28, v28, 2.0, -v51
	s_waitcnt lgkmcnt(0)
	v_mul_f32_e32 v6, v5, v26
	v_mul_f32_e32 v26, v121, v26
	v_fma_f32 v27, v27, 2.0, -v16
	v_fma_f32 v7, v121, v25, -v6
	v_fmac_f32_e32 v26, v5, v25
	ds_read2st64_b32 v[5:6], v33 offset0:60 offset1:62
	v_sub_f32_e32 v42, v27, v42
	s_waitcnt vmcnt(0) lgkmcnt(0)
	v_sub_f32_e32 v61, v7, v61
	v_sub_f32_e32 v18, v26, v18
	s_barrier
	v_fma_f32 v27, v27, 2.0, -v42
	buffer_gl0_inv
	v_fma_f32 v7, v7, 2.0, -v61
	v_fma_f32 v26, v26, 2.0, -v18
	v_sub_f32_e32 v28, v27, v28
	v_mul_f32_e32 v25, v5, v10
	v_mul_f32_e32 v105, v6, v10
	;; [unrolled: 1-line block ×4, first 2 shown]
	v_fma_f32 v25, v115, v9, -v25
	v_fma_f32 v105, v116, v9, -v105
	v_fmac_f32_e32 v106, v5, v9
	v_fmac_f32_e32 v10, v6, v9
	v_sub_f32_e32 v5, v31, v55
	v_sub_f32_e32 v6, v38, v21
	;; [unrolled: 1-line block ×5, first 2 shown]
	v_fma_f32 v31, v31, 2.0, -v5
	v_fma_f32 v38, v38, 2.0, -v6
	;; [unrolled: 1-line block ×3, first 2 shown]
	v_sub_f32_e32 v21, v58, v21
	v_fma_f32 v48, v48, 2.0, -v62
	v_add_f32_e32 v6, v5, v6
	v_sub_f32_e32 v62, v55, v62
	v_fma_f32 v9, v119, 2.0, -v58
	v_fma_f32 v13, v13, 2.0, -v55
	;; [unrolled: 1-line block ×3, first 2 shown]
	v_sub_f32_e32 v25, v39, v25
	v_sub_f32_e32 v103, v57, v106
	;; [unrolled: 1-line block ×3, first 2 shown]
	v_fma_f32 v58, v58, 2.0, -v21
	v_fma_f32 v5, v5, 2.0, -v6
	v_sub_f32_e32 v48, v30, v48
	v_fma_f32 v55, v55, 2.0, -v62
	v_fma_f32 v102, v104, 2.0, -v15
	;; [unrolled: 1-line block ×3, first 2 shown]
	v_sub_f32_e32 v38, v9, v38
	v_fma_f32 v57, v57, 2.0, -v103
	v_fma_f32 v31, v31, 2.0, -v37
	;; [unrolled: 1-line block ×3, first 2 shown]
	v_sub_f32_e32 v103, v64, v103
	v_fmamk_f32 v104, v55, 0xbf3504f3, v58
	v_fmamk_f32 v106, v17, 0xbf3504f3, v5
	v_sub_f32_e32 v46, v98, v46
	v_sub_f32_e32 v43, v102, v43
	;; [unrolled: 1-line block ×4, first 2 shown]
	v_fma_f32 v59, v59, 2.0, -v29
	v_add_f32_e32 v25, v19, v25
	v_fma_f32 v64, v64, 2.0, -v103
	v_sub_f32_e32 v30, v31, v30
	v_fmac_f32_e32 v104, 0xbf3504f3, v17
	v_fmac_f32_e32 v106, 0x3f3504f3, v55
	v_fmamk_f32 v55, v62, 0x3f3504f3, v21
	v_sub_f32_e32 v48, v38, v48
	v_fma_f32 v9, v9, 2.0, -v38
	v_sub_f32_e32 v49, v13, v49
	v_fma_f32 v98, v98, 2.0, -v46
	v_fma_f32 v102, v102, 2.0, -v43
	;; [unrolled: 1-line block ×8, first 2 shown]
	v_fmamk_f32 v58, v11, 0x3f3504f3, v6
	v_fmac_f32_e32 v55, 0xbf3504f3, v11
	v_fma_f32 v11, v38, 2.0, -v48
	v_fmamk_f32 v38, v64, 0xbf3504f3, v59
	v_fma_f32 v13, v13, 2.0, -v49
	v_add_f32_e32 v49, v37, v49
	v_fmac_f32_e32 v58, 0x3f3504f3, v62
	v_sub_f32_e32 v45, v98, v45
	v_sub_f32_e32 v53, v102, v53
	v_fmamk_f32 v62, v17, 0xbf3504f3, v15
	v_fmac_f32_e32 v38, 0xbf3504f3, v17
	v_add_f32_e32 v39, v43, v39
	v_fma_f32 v37, v37, 2.0, -v49
	v_fma_f32 v17, v98, 2.0, -v45
	;; [unrolled: 1-line block ×3, first 2 shown]
	v_fmac_f32_e32 v62, 0x3f3504f3, v64
	v_fma_f32 v59, v59, 2.0, -v38
	v_fmamk_f32 v64, v103, 0x3f3504f3, v29
	v_sub_f32_e32 v57, v46, v57
	v_fmamk_f32 v102, v25, 0x3f3504f3, v23
	v_fma_f32 v43, v43, 2.0, -v39
	v_fma_f32 v5, v5, 2.0, -v106
	;; [unrolled: 1-line block ×3, first 2 shown]
	v_fmac_f32_e32 v64, 0xbf3504f3, v25
	v_fma_f32 v25, v46, 2.0, -v57
	v_fmac_f32_e32 v102, 0x3f3504f3, v103
	v_sub_f32_e32 v46, v19, v98
	v_fmamk_f32 v98, v59, 0xbf6c835e, v31
	v_fmamk_f32 v108, v43, 0xbf3504f3, v37
	v_fma_f32 v21, v21, 2.0, -v55
	v_fma_f32 v6, v6, 2.0, -v58
	;; [unrolled: 1-line block ×4, first 2 shown]
	v_fmamk_f32 v103, v15, 0xbf6c835e, v5
	v_fmac_f32_e32 v98, 0xbec3ef15, v15
	v_fmamk_f32 v15, v25, 0xbf3504f3, v11
	v_fmac_f32_e32 v108, 0x3f3504f3, v25
	v_fmamk_f32 v25, v38, 0x3ec3ef15, v104
	v_sub_f32_e32 v13, v9, v13
	v_fma_f32 v107, v19, 2.0, -v46
	v_fmamk_f32 v19, v29, 0xbec3ef15, v21
	v_fmac_f32_e32 v15, 0xbf3504f3, v43
	v_fmamk_f32 v43, v23, 0xbec3ef15, v6
	v_add_f32_e32 v45, v30, v45
	v_fmac_f32_e32 v25, 0xbf6c835e, v62
	v_fmac_f32_e32 v103, 0x3ec3ef15, v59
	;; [unrolled: 1-line block ×3, first 2 shown]
	v_fma_f32 v59, v37, 2.0, -v108
	v_fmac_f32_e32 v43, 0x3f6c835e, v29
	v_sub_f32_e32 v23, v13, v53
	v_fmamk_f32 v53, v62, 0x3ec3ef15, v106
	v_fma_f32 v62, v30, 2.0, -v45
	v_fmamk_f32 v29, v57, 0x3f3504f3, v48
	v_fmamk_f32 v109, v39, 0x3f3504f3, v49
	v_fma_f32 v30, v104, 2.0, -v25
	v_fmamk_f32 v37, v64, 0x3f6c835e, v55
	v_fmamk_f32 v104, v102, 0x3f6c835e, v58
	v_fmac_f32_e32 v29, 0xbf3504f3, v39
	v_fmac_f32_e32 v109, 0x3f3504f3, v57
	;; [unrolled: 1-line block ×5, first 2 shown]
	v_fma_f32 v38, v48, 2.0, -v29
	v_fma_f32 v48, v49, 2.0, -v109
	v_sub_f32_e32 v39, v4, v60
	v_fma_f32 v49, v55, 2.0, -v37
	v_fma_f32 v55, v58, 2.0, -v104
	v_sub_f32_e32 v58, v41, v99
	v_sub_f32_e32 v60, v14, v63
	;; [unrolled: 1-line block ×3, first 2 shown]
	v_fma_f32 v4, v4, 2.0, -v39
	v_sub_f32_e32 v64, v44, v101
	v_fma_f32 v41, v41, 2.0, -v58
	v_add_f32_e32 v58, v16, v58
	v_sub_f32_e32 v8, v60, v8
	v_fma_f32 v14, v14, 2.0, -v60
	v_sub_f32_e32 v10, v54, v10
	v_fma_f32 v39, v39, 2.0, -v24
	v_fma_f32 v16, v16, 2.0, -v58
	v_fma_f32 v60, v60, 2.0, -v8
	v_sub_f32_e32 v63, v47, v100
	v_sub_f32_e32 v99, v40, v105
	v_fma_f32 v44, v44, 2.0, -v64
	v_fma_f32 v54, v54, 2.0, -v10
	v_sub_f32_e32 v64, v61, v64
	v_sub_f32_e32 v10, v65, v10
	v_fmamk_f32 v100, v60, 0xbf3504f3, v39
	v_fmamk_f32 v101, v20, 0xbf3504f3, v16
	v_fma_f32 v47, v47, 2.0, -v63
	v_fma_f32 v40, v40, 2.0, -v99
	v_fma_f32 v61, v61, 2.0, -v64
	v_add_f32_e32 v99, v22, v99
	v_fma_f32 v65, v65, 2.0, -v10
	v_fmac_f32_e32 v100, 0xbf3504f3, v20
	v_fmac_f32_e32 v101, 0x3f3504f3, v60
	v_fmamk_f32 v60, v12, 0x3f3504f3, v58
	v_sub_f32_e32 v41, v4, v41
	v_sub_f32_e32 v50, v14, v50
	;; [unrolled: 1-line block ×4, first 2 shown]
	v_add_f32_e32 v63, v18, v63
	v_sub_f32_e32 v40, v52, v40
	v_sub_f32_e32 v54, v56, v54
	v_fma_f32 v20, v22, 2.0, -v99
	v_fma_f32 v22, v27, 2.0, -v28
	;; [unrolled: 1-line block ×3, first 2 shown]
	v_fmamk_f32 v39, v8, 0x3f3504f3, v24
	v_fmac_f32_e32 v60, 0x3f3504f3, v8
	v_fmamk_f32 v8, v65, 0xbf3504f3, v61
	v_fma_f32 v14, v14, 2.0, -v50
	v_fma_f32 v7, v7, 2.0, -v47
	;; [unrolled: 1-line block ×6, first 2 shown]
	v_sub_f32_e32 v51, v41, v51
	v_add_f32_e32 v50, v42, v50
	v_fmac_f32_e32 v8, 0xbf3504f3, v20
	v_fma_f32 v4, v4, 2.0, -v41
	v_fmac_f32_e32 v39, 0xbf3504f3, v12
	v_fma_f32 v12, v41, 2.0, -v51
	v_fma_f32 v41, v42, 2.0, -v50
	v_sub_f32_e32 v42, v7, v52
	v_sub_f32_e32 v52, v26, v56
	v_fmamk_f32 v56, v20, 0xbf3504f3, v18
	v_fma_f32 v20, v58, 2.0, -v60
	v_fma_f32 v58, v61, 2.0, -v8
	v_fmamk_f32 v61, v10, 0x3f3504f3, v64
	v_sub_f32_e32 v54, v47, v54
	v_fmac_f32_e32 v56, 0x3f3504f3, v65
	v_fmamk_f32 v65, v99, 0x3f3504f3, v63
	v_fma_f32 v16, v16, 2.0, -v101
	v_fmac_f32_e32 v61, 0xbf3504f3, v99
	v_fma_f32 v26, v26, 2.0, -v52
	v_add_f32_e32 v40, v44, v40
	v_fma_f32 v18, v18, 2.0, -v56
	v_fma_f32 v47, v47, 2.0, -v54
	v_fmac_f32_e32 v65, 0x3f3504f3, v10
	v_fma_f32 v10, v64, 2.0, -v61
	v_fmamk_f32 v64, v58, 0xbf6c835e, v27
	v_fma_f32 v24, v24, 2.0, -v39
	v_fma_f32 v44, v44, 2.0, -v40
	v_sub_f32_e32 v99, v22, v26
	v_fma_f32 v26, v63, 2.0, -v65
	v_fmamk_f32 v63, v18, 0xbf6c835e, v16
	v_fmac_f32_e32 v64, 0xbec3ef15, v18
	v_fmamk_f32 v18, v47, 0xbf3504f3, v12
	v_fma_f32 v102, v22, 2.0, -v99
	v_fmamk_f32 v105, v44, 0xbf3504f3, v41
	v_sub_f32_e32 v14, v4, v14
	v_fma_f32 v22, v27, 2.0, -v64
	v_fmamk_f32 v27, v10, 0xbec3ef15, v24
	v_fmac_f32_e32 v18, 0xbf3504f3, v44
	v_fmamk_f32 v44, v26, 0xbec3ef15, v20
	v_fmac_f32_e32 v63, 0x3ec3ef15, v58
	v_fmamk_f32 v58, v56, 0x3ec3ef15, v101
	v_fmac_f32_e32 v27, 0xbf6c835e, v26
	v_fmac_f32_e32 v105, 0x3f3504f3, v47
	v_fmac_f32_e32 v44, 0x3f6c835e, v10
	v_fmamk_f32 v10, v8, 0x3ec3ef15, v100
	v_fma_f32 v47, v16, 2.0, -v63
	v_fma_f32 v16, v24, 2.0, -v27
	v_sub_f32_e32 v24, v14, v52
	v_fma_f32 v52, v20, 2.0, -v44
	v_fmac_f32_e32 v10, 0xbf6c835e, v56
	v_fmac_f32_e32 v58, 0x3f6c835e, v8
	v_fmamk_f32 v20, v54, 0x3f3504f3, v51
	v_fma_f32 v9, v9, 2.0, -v13
	v_fma_f32 v4, v4, 2.0, -v14
	;; [unrolled: 1-line block ×6, first 2 shown]
	v_fmamk_f32 v101, v40, 0x3f3504f3, v50
	v_fmamk_f32 v26, v61, 0x3f6c835e, v39
	v_fmac_f32_e32 v20, 0xbf3504f3, v40
	v_lshlrev_b32_e32 v40, 4, v68
	v_sub_f32_e32 v17, v9, v17
	v_sub_f32_e32 v7, v4, v7
	v_add_f32_e32 v42, v28, v42
	v_fmac_f32_e32 v26, 0xbec3ef15, v65
	v_and_or_b32 v3, 0xf80, v40, v3
	v_fma_f32 v9, v9, 2.0, -v17
	v_fma_f32 v31, v31, 2.0, -v98
	v_fma_f32 v5, v5, 2.0, -v103
	v_fma_f32 v57, v106, 2.0, -v53
	v_fmamk_f32 v106, v65, 0x3f6c835e, v60
	v_fma_f32 v11, v11, 2.0, -v15
	v_fma_f32 v21, v21, 2.0, -v19
	;; [unrolled: 1-line block ×9, first 2 shown]
	v_lshl_add_u32 v3, v3, 2, v2
	v_fma_f32 v41, v41, 2.0, -v105
	v_fmac_f32_e32 v101, 0x3f3504f3, v54
	v_fmac_f32_e32 v106, 0x3ec3ef15, v61
	ds_write2_b32 v0, v9, v31 offset1:8
	ds_write2_b32 v0, v11, v21 offset0:16 offset1:24
	ds_write2_b32 v0, v13, v30 offset0:32 offset1:40
	;; [unrolled: 1-line block ×7, first 2 shown]
	ds_write2_b32 v3, v4, v22 offset1:8
	ds_write2_b32 v3, v12, v16 offset0:16 offset1:24
	ds_write2_b32 v3, v8, v14 offset0:32 offset1:40
	;; [unrolled: 1-line block ×7, first 2 shown]
	s_waitcnt lgkmcnt(0)
	s_barrier
	buffer_gl0_inv
	ds_read_b32 v31, v34
	ds_read2st64_b32 v[7:8], v33 offset0:16 offset1:18
	ds_read2st64_b32 v[9:10], v33 offset0:32 offset1:34
	;; [unrolled: 1-line block ×3, first 2 shown]
	ds_read_b32 v65, v36
	ds_read_b32 v98, v35
	;; [unrolled: 1-line block ×3, first 2 shown]
	ds_read2st64_b32 v[13:14], v33 offset0:20 offset1:22
	ds_read2st64_b32 v[15:16], v33 offset0:36 offset1:38
	;; [unrolled: 1-line block ×11, first 2 shown]
	s_waitcnt lgkmcnt(0)
	s_barrier
	buffer_gl0_inv
	ds_write2_b32 v0, v107, v5 offset1:8
	ds_write2_b32 v0, v59, v6 offset0:16 offset1:24
	ds_write2_b32 v0, v62, v57 offset0:32 offset1:40
	;; [unrolled: 1-line block ×7, first 2 shown]
	ds_write2_b32 v3, v102, v47 offset1:8
	ds_write2_b32 v3, v41, v52 offset0:16 offset1:24
	ds_write2_b32 v3, v56, v100 offset0:32 offset1:40
	v_mul_u32_u24_e32 v0, 3, v66
	v_fma_f32 v50, v50, 2.0, -v101
	v_fma_f32 v51, v60, 2.0, -v106
	ds_write2_b32 v3, v50, v51 offset0:48 offset1:56
	ds_write2_b32 v3, v99, v63 offset0:64 offset1:72
	ds_write2_b32 v3, v105, v44 offset0:80 offset1:88
	ds_write2_b32 v3, v42, v58 offset0:96 offset1:104
	v_lshlrev_b32_e32 v0, 3, v0
	ds_write2_b32 v3, v101, v106 offset0:112 offset1:120
	s_waitcnt lgkmcnt(0)
	s_barrier
	buffer_gl0_inv
	s_clause 0x1
	global_load_dwordx4 v[3:6], v0, s[2:3] offset:960
	global_load_dwordx2 v[41:42], v0, s[2:3] offset:976
	ds_read2st64_b32 v[43:44], v33 offset0:16 offset1:18
	ds_read2st64_b32 v[45:46], v33 offset0:32 offset1:34
	ds_read_b32 v0, v34
	ds_read2st64_b32 v[47:48], v33 offset0:48 offset1:50
	ds_read_b32 v99, v36
	ds_read_b32 v100, v35
	;; [unrolled: 1-line block ×3, first 2 shown]
	ds_read2st64_b32 v[49:50], v33 offset0:20 offset1:22
	ds_read2st64_b32 v[51:52], v33 offset0:36 offset1:38
	;; [unrolled: 1-line block ×8, first 2 shown]
	s_waitcnt vmcnt(1) lgkmcnt(14)
	v_mul_f32_e32 v102, v43, v4
	v_mul_f32_e32 v103, v7, v4
	;; [unrolled: 1-line block ×3, first 2 shown]
	s_waitcnt lgkmcnt(13)
	v_mul_f32_e32 v104, v45, v6
	s_waitcnt vmcnt(0)
	v_mul_f32_e32 v106, v17, v42
	v_fma_f32 v102, v7, v3, -v102
	v_mul_f32_e32 v7, v44, v4
	v_fmac_f32_e32 v103, v43, v3
	v_mul_f32_e32 v43, v8, v4
	v_fmac_f32_e32 v105, v45, v5
	v_fma_f32 v9, v9, v5, -v104
	v_fma_f32 v45, v8, v3, -v7
	s_waitcnt lgkmcnt(11)
	v_mul_f32_e32 v7, v47, v42
	v_mul_f32_e32 v8, v46, v6
	v_fmac_f32_e32 v43, v44, v3
	v_mul_f32_e32 v44, v11, v42
	v_mul_f32_e32 v104, v10, v6
	v_fma_f32 v11, v11, v41, -v7
	v_mul_f32_e32 v7, v48, v42
	v_fma_f32 v10, v10, v5, -v8
	s_waitcnt lgkmcnt(7)
	v_mul_f32_e32 v8, v49, v4
	v_fmac_f32_e32 v104, v46, v5
	v_mul_f32_e32 v46, v12, v42
	v_fma_f32 v12, v12, v41, -v7
	s_waitcnt lgkmcnt(6)
	v_mul_f32_e32 v7, v51, v6
	v_fmac_f32_e32 v44, v47, v41
	v_mul_f32_e32 v47, v13, v4
	v_fmac_f32_e32 v46, v48, v41
	v_fma_f32 v13, v13, v3, -v8
	v_mul_f32_e32 v8, v50, v4
	v_fma_f32 v48, v15, v5, -v7
	s_waitcnt lgkmcnt(5)
	v_mul_f32_e32 v7, v53, v42
	v_fmac_f32_e32 v47, v49, v3
	v_mul_f32_e32 v49, v14, v4
	v_mul_f32_e32 v15, v15, v6
	v_fma_f32 v14, v14, v3, -v8
	v_mul_f32_e32 v8, v52, v6
	v_fma_f32 v17, v17, v41, -v7
	v_mul_f32_e32 v7, v54, v42
	v_fmac_f32_e32 v49, v50, v3
	v_fmac_f32_e32 v15, v51, v5
	v_mul_f32_e32 v50, v16, v6
	v_fma_f32 v16, v16, v5, -v8
	v_mul_f32_e32 v51, v18, v42
	s_waitcnt lgkmcnt(4)
	v_mul_f32_e32 v8, v55, v4
	v_fma_f32 v18, v18, v41, -v7
	v_mul_f32_e32 v7, v56, v4
	v_fmac_f32_e32 v106, v53, v41
	v_fmac_f32_e32 v50, v52, v5
	v_mul_f32_e32 v52, v21, v4
	v_fmac_f32_e32 v51, v54, v41
	v_fma_f32 v21, v21, v3, -v8
	s_waitcnt lgkmcnt(3)
	v_mul_f32_e32 v8, v57, v6
	v_mul_f32_e32 v53, v23, v6
	v_fma_f32 v54, v22, v3, -v7
	v_mul_f32_e32 v22, v22, v4
	v_mul_f32_e32 v7, v58, v6
	v_fmac_f32_e32 v52, v55, v3
	v_fma_f32 v23, v23, v5, -v8
	v_mul_f32_e32 v55, v24, v6
	v_fmac_f32_e32 v53, v57, v5
	v_fmac_f32_e32 v22, v56, v3
	v_fma_f32 v24, v24, v5, -v7
	s_waitcnt lgkmcnt(1)
	v_mul_f32_e32 v56, v61, v4
	v_mul_f32_e32 v57, v29, v4
	ds_read2st64_b32 v[7:8], v33 offset0:60 offset1:62
	v_fmac_f32_e32 v55, v58, v5
	v_mul_f32_e32 v58, v62, v4
	v_fma_f32 v29, v29, v3, -v56
	v_mul_f32_e32 v56, v30, v4
	v_fmac_f32_e32 v57, v61, v3
	v_mul_f32_e32 v61, v37, v6
	v_fma_f32 v30, v30, v3, -v58
	s_waitcnt lgkmcnt(1)
	v_mul_f32_e32 v4, v63, v6
	v_mul_f32_e32 v58, v64, v6
	v_fmac_f32_e32 v56, v62, v3
	v_mul_f32_e32 v62, v38, v6
	v_fmac_f32_e32 v61, v63, v5
	v_mul_f32_e32 v63, v25, v42
	v_fma_f32 v38, v38, v5, -v58
	v_mul_f32_e32 v58, v59, v42
	v_fmac_f32_e32 v62, v64, v5
	v_mul_f32_e32 v64, v60, v42
	v_fmac_f32_e32 v63, v59, v41
	v_sub_f32_e32 v59, v0, v105
	v_sub_f32_e32 v44, v103, v44
	v_mul_f32_e32 v107, v26, v42
	v_fma_f32 v25, v25, v41, -v58
	v_fma_f32 v26, v26, v41, -v64
	s_waitcnt lgkmcnt(0)
	v_mul_f32_e32 v58, v7, v42
	v_sub_f32_e32 v9, v31, v9
	v_sub_f32_e32 v11, v102, v11
	v_fma_f32 v0, v0, 2.0, -v59
	v_fma_f32 v64, v103, 2.0, -v44
	v_fmac_f32_e32 v107, v60, v41
	v_fma_f32 v58, v39, v41, -v58
	v_fma_f32 v31, v31, 2.0, -v9
	v_fma_f32 v60, v102, 2.0, -v11
	v_mul_f32_e32 v39, v39, v42
	v_mul_f32_e32 v102, v8, v42
	;; [unrolled: 1-line block ×3, first 2 shown]
	v_sub_f32_e32 v64, v0, v64
	v_sub_f32_e32 v60, v31, v60
	v_fmac_f32_e32 v39, v7, v41
	v_fma_f32 v7, v40, v41, -v102
	v_fmac_f32_e32 v42, v8, v41
	v_fma_f32 v40, v0, 2.0, -v64
	v_sub_f32_e32 v0, v98, v10
	v_add_f32_e32 v41, v59, v11
	v_sub_f32_e32 v11, v100, v104
	v_sub_f32_e32 v48, v110, v48
	;; [unrolled: 1-line block ×3, first 2 shown]
	v_fma_f32 v37, v37, v5, -v4
	ds_read2st64_b32 v[3:4], v33 offset0:8 offset1:10
	v_fma_f32 v8, v31, 2.0, -v60
	v_sub_f32_e32 v10, v9, v44
	v_sub_f32_e32 v12, v45, v12
	v_fma_f32 v31, v98, 2.0, -v0
	v_sub_f32_e32 v44, v43, v46
	v_fma_f32 v46, v59, 2.0, -v41
	v_fma_f32 v59, v100, 2.0, -v11
	v_sub_f32_e32 v15, v101, v15
	v_sub_f32_e32 v98, v47, v106
	v_fma_f32 v100, v110, 2.0, -v48
	v_fma_f32 v13, v13, 2.0, -v17
	;; [unrolled: 1-line block ×3, first 2 shown]
	v_add_f32_e32 v102, v11, v12
	v_fma_f32 v47, v47, 2.0, -v98
	v_sub_f32_e32 v51, v49, v51
	v_sub_f32_e32 v12, v100, v13
	;; [unrolled: 1-line block ×4, first 2 shown]
	v_add_f32_e32 v98, v15, v17
	v_sub_f32_e32 v17, v99, v50
	v_sub_f32_e32 v23, v19, v23
	;; [unrolled: 1-line block ×3, first 2 shown]
	v_fma_f32 v101, v101, 2.0, -v15
	v_sub_f32_e32 v18, v14, v18
	v_fma_f32 v50, v65, 2.0, -v13
	v_fma_f32 v65, v15, 2.0, -v98
	v_fma_f32 v15, v99, 2.0, -v17
	v_fma_f32 v49, v49, 2.0, -v51
	v_fma_f32 v19, v19, 2.0, -v23
	v_fma_f32 v21, v21, 2.0, -v25
	ds_read2st64_b32 v[5:6], v33 offset0:12 offset1:14
	v_sub_f32_e32 v47, v101, v47
	v_fma_f32 v14, v14, 2.0, -v18
	v_sub_f32_e32 v49, v15, v49
	v_add_f32_e32 v99, v17, v18
	v_sub_f32_e32 v18, v19, v21
	v_fma_f32 v103, v11, 2.0, -v102
	v_fma_f32 v11, v100, 2.0, -v12
	v_fma_f32 v100, v101, 2.0, -v47
	v_fma_f32 v101, v15, 2.0, -v49
	v_fma_f32 v104, v17, 2.0, -v99
	v_fma_f32 v15, v19, 2.0, -v18
	v_sub_f32_e32 v17, v20, v24
	v_sub_f32_e32 v19, v54, v26
	s_waitcnt lgkmcnt(1)
	v_sub_f32_e32 v24, v4, v55
	v_sub_f32_e32 v26, v22, v107
	;; [unrolled: 1-line block ×3, first 2 shown]
	v_fma_f32 v20, v20, 2.0, -v17
	v_fma_f32 v54, v54, 2.0, -v19
	;; [unrolled: 1-line block ×4, first 2 shown]
	v_add_f32_e32 v55, v53, v25
	v_sub_f32_e32 v37, v27, v37
	v_sub_f32_e32 v25, v20, v54
	;; [unrolled: 1-line block ×5, first 2 shown]
	s_waitcnt lgkmcnt(0)
	v_sub_f32_e32 v58, v5, v61
	v_fma_f32 v27, v27, 2.0, -v37
	v_add_f32_e32 v61, v24, v19
	v_fma_f32 v19, v57, 2.0, -v39
	v_fma_f32 v29, v29, 2.0, -v22
	;; [unrolled: 1-line block ×3, first 2 shown]
	v_sub_f32_e32 v45, v31, v45
	v_sub_f32_e32 v63, v52, v63
	v_sub_f32_e32 v26, v17, v26
	v_sub_f32_e32 v29, v27, v29
	v_fma_f32 v43, v43, 2.0, -v44
	v_sub_f32_e32 v44, v0, v44
	v_fma_f32 v9, v9, 2.0, -v10
	v_sub_f32_e32 v105, v5, v19
	v_sub_f32_e32 v19, v28, v38
	;; [unrolled: 1-line block ×3, first 2 shown]
	v_fma_f32 v31, v31, 2.0, -v45
	v_fma_f32 v52, v52, 2.0, -v63
	v_sub_f32_e32 v21, v23, v63
	v_fma_f32 v57, v4, 2.0, -v54
	v_fma_f32 v4, v17, 2.0, -v26
	;; [unrolled: 1-line block ×4, first 2 shown]
	v_sub_f32_e32 v24, v6, v62
	v_sub_f32_e32 v27, v56, v42
	v_fma_f32 v0, v0, 2.0, -v44
	v_sub_f32_e32 v14, v50, v14
	s_barrier
	buffer_gl0_inv
	ds_write_b32 v33, v8
	ds_write_b32 v35, v9
	;; [unrolled: 1-line block ×7, first 2 shown]
	v_lshl_add_u32 v45, v72, 2, v2
	v_sub_f32_e32 v51, v13, v51
	v_fma_f32 v28, v28, 2.0, -v19
	v_fma_f32 v30, v30, 2.0, -v7
	v_lshl_add_u32 v60, v74, 2, v2
	v_fma_f32 v48, v48, 2.0, -v16
	v_sub_f32_e32 v38, v37, v39
	v_fma_f32 v6, v6, 2.0, -v24
	v_fma_f32 v39, v56, 2.0, -v27
	v_lshl_add_u32 v72, v81, 2, v2
	v_lshl_add_u32 v74, v89, 2, v2
	;; [unrolled: 1-line block ×3, first 2 shown]
	v_fma_f32 v50, v50, 2.0, -v14
	ds_write_b32 v45, v44
	ds_write_b32 v60, v11
	;; [unrolled: 1-line block ×5, first 2 shown]
	v_lshl_add_u32 v44, v75, 2, v2
	v_fma_f32 v13, v13, 2.0, -v51
	v_add_f32_e32 v56, v58, v22
	v_sub_f32_e32 v22, v28, v30
	v_lshl_add_u32 v48, v82, 2, v2
	v_sub_f32_e32 v62, v6, v39
	v_sub_f32_e32 v27, v19, v27
	v_lshl_add_u32 v75, v90, 2, v2
	v_fma_f32 v23, v23, 2.0, -v21
	v_add_f32_e32 v106, v24, v7
	ds_write_b32 v44, v50
	ds_write_b32 v48, v13
	;; [unrolled: 1-line block ×5, first 2 shown]
	v_lshl_add_u32 v50, v83, 2, v2
	v_lshl_add_u32 v83, v84, 2, v2
	;; [unrolled: 1-line block ×4, first 2 shown]
	v_fma_f32 v7, v28, 2.0, -v22
	v_lshl_add_u32 v51, v91, 2, v2
	v_fma_f32 v107, v6, 2.0, -v62
	v_fma_f32 v6, v19, 2.0, -v27
	v_lshl_add_u32 v82, v96, 2, v2
	v_fma_f32 v20, v20, 2.0, -v25
	v_fma_f32 v42, v5, 2.0, -v105
	v_fma_f32 v5, v37, 2.0, -v38
	v_lshl_add_u32 v91, v94, 2, v2
	v_lshl_add_u32 v89, v93, 2, v2
	;; [unrolled: 1-line block ×3, first 2 shown]
	v_fma_f32 v108, v24, 2.0, -v106
	ds_write_b32 v50, v23
	ds_write_b32 v51, v18
	;; [unrolled: 1-line block ×15, first 2 shown]
	s_waitcnt lgkmcnt(0)
	s_barrier
	buffer_gl0_inv
	ds_read_b32 v37, v34
	ds_read2st64_b32 v[6:7], v33 offset0:8 offset1:10
	ds_read2st64_b32 v[4:5], v33 offset0:16 offset1:18
	;; [unrolled: 1-line block ×7, first 2 shown]
	ds_read_b32 v0, v36
	ds_read_b32 v38, v35
	;; [unrolled: 1-line block ×3, first 2 shown]
	ds_read2st64_b32 v[26:27], v33 offset0:12 offset1:14
	ds_read2st64_b32 v[22:23], v33 offset0:20 offset1:22
	;; [unrolled: 1-line block ×7, first 2 shown]
	v_fma_f32 v3, v3, 2.0, -v53
	v_sub_f32_e32 v43, v59, v43
	v_fma_f32 v53, v53, 2.0, -v55
	v_fma_f32 v58, v58, 2.0, -v56
	s_waitcnt lgkmcnt(0)
	v_sub_f32_e32 v52, v3, v52
	v_fma_f32 v59, v59, 2.0, -v43
	s_barrier
	buffer_gl0_inv
	v_fma_f32 v3, v3, 2.0, -v52
	ds_write_b32 v33, v40
	ds_write_b32 v35, v46
	;; [unrolled: 1-line block ×32, first 2 shown]
	s_waitcnt lgkmcnt(0)
	s_barrier
	buffer_gl0_inv
	s_and_saveexec_b32 s6, vcc_lo
	s_cbranch_execz .LBB0_6
; %bb.5:
	v_mul_i32_i24_e32 v2, 7, v85
	v_mov_b32_e32 v3, 0
	v_mul_u32_u24_e32 v42, 7, v66
	v_lshlrev_b64 v[40:41], 3, v[2:3]
	v_mul_i32_i24_e32 v2, 7, v67
	v_lshlrev_b32_e32 v44, 3, v42
	v_add_co_u32 v60, vcc_lo, s2, v40
	v_add_co_ci_u32_e32 v61, vcc_lo, s3, v41, vcc_lo
	v_lshlrev_b64 v[40:41], 3, v[2:3]
	v_add_co_u32 v64, vcc_lo, 0xfc0, v60
	v_add_co_ci_u32_e32 v65, vcc_lo, 0, v61, vcc_lo
	v_add_co_u32 v50, s6, s2, v44
	v_add_co_u32 v2, vcc_lo, s2, v40
	v_add_co_ci_u32_e32 v67, vcc_lo, s3, v41, vcc_lo
	v_add_co_ci_u32_e64 v51, null, s3, 0, s6
	v_add_co_u32 v77, vcc_lo, 0xfc0, v2
	global_load_dwordx4 v[40:43], v[64:65], off offset:16
	v_add_co_ci_u32_e32 v78, vcc_lo, 0, v67, vcc_lo
	v_add_co_u32 v48, vcc_lo, 0x800, v50
	v_add_co_ci_u32_e32 v49, vcc_lo, 0, v51, vcc_lo
	global_load_dwordx4 v[44:47], v[77:78], off offset:16
	v_add_co_u32 v79, vcc_lo, 0xfc0, v50
	v_add_co_ci_u32_e32 v80, vcc_lo, 0, v51, vcc_lo
	s_clause 0x2
	global_load_dwordx4 v[48:51], v[48:49], off offset:1984
	global_load_dwordx4 v[52:55], v[79:80], off offset:16
	;; [unrolled: 1-line block ×3, first 2 shown]
	v_add_co_u32 v60, vcc_lo, 0x800, v60
	v_add_co_ci_u32_e32 v61, vcc_lo, 0, v61, vcc_lo
	s_clause 0x1
	global_load_dwordx4 v[60:63], v[60:61], off offset:1984
	global_load_dwordx4 v[69:72], v[64:65], off offset:32
	v_add_co_u32 v73, vcc_lo, 0x800, v2
	v_add_co_ci_u32_e32 v74, vcc_lo, 0, v67, vcc_lo
	s_clause 0x2
	global_load_dwordx2 v[64:65], v[64:65], off offset:48
	global_load_dwordx4 v[73:76], v[73:74], off offset:1984
	global_load_dwordx2 v[81:82], v[77:78], off offset:48
	ds_read2st64_b32 v[83:84], v33 offset0:36 offset1:38
	ds_read2st64_b32 v[85:86], v33 offset0:28 offset1:30
	v_mul_i32_i24_e32 v2, 7, v68
	ds_read2st64_b32 v[67:68], v33 offset0:20 offset1:22
	ds_read2st64_b32 v[87:88], v33 offset0:52 offset1:54
	;; [unrolled: 1-line block ×7, first 2 shown]
	global_load_dwordx2 v[79:80], v[79:80], off offset:48
	v_lshlrev_b64 v[91:92], 3, v[2:3]
	v_add_co_u32 v2, vcc_lo, s2, v91
	v_add_co_ci_u32_e32 v101, vcc_lo, s3, v92, vcc_lo
	ds_read2st64_b32 v[91:92], v33 offset0:8 offset1:10
	s_waitcnt vmcnt(10) lgkmcnt(9)
	v_mul_f32_e32 v102, v42, v84
	s_waitcnt lgkmcnt(8)
	v_mul_f32_e32 v103, v40, v86
	v_mul_f32_e32 v86, v41, v86
	;; [unrolled: 1-line block ×3, first 2 shown]
	v_fmac_f32_e32 v102, v29, v43
	v_fmac_f32_e32 v103, v31, v41
	v_fma_f32 v86, v31, v40, -v86
	v_fma_f32 v104, v29, v42, -v84
	global_load_dwordx4 v[40:43], v[77:78], off offset:32
	s_waitcnt vmcnt(10)
	v_mul_f32_e32 v29, v45, v85
	ds_read2st64_b32 v[77:78], v33 offset0:40 offset1:42
	v_mul_f32_e32 v105, v44, v85
	v_mul_f32_e32 v85, v46, v83
	;; [unrolled: 1-line block ×3, first 2 shown]
	v_fma_f32 v106, v30, v44, -v29
	s_waitcnt vmcnt(8) lgkmcnt(2)
	v_mul_f32_e32 v109, v52, v99
	v_mul_f32_e32 v29, v53, v99
	v_fmac_f32_e32 v105, v30, v45
	ds_read2st64_b32 v[83:84], v33 offset0:44 offset1:46
	v_fmac_f32_e32 v85, v28, v47
	v_fma_f32 v107, v28, v46, -v31
	v_mul_f32_e32 v28, v51, v93
	v_mul_f32_e32 v108, v54, v97
	;; [unrolled: 1-line block ×3, first 2 shown]
	v_fmac_f32_e32 v109, v14, v53
	v_fma_f32 v14, v14, v52, -v29
	s_waitcnt lgkmcnt(2)
	v_mul_f32_e32 v29, v49, v91
	v_fmac_f32_e32 v108, v8, v55
	v_fma_f32 v8, v8, v54, -v30
	v_mul_f32_e32 v91, v48, v91
	v_mul_f32_e32 v54, v50, v93
	v_fma_f32 v93, v4, v50, -v28
	v_fma_f32 v55, v6, v48, -v29
	ds_read2st64_b32 v[28:29], v33 offset0:60 offset1:62
	s_waitcnt vmcnt(7)
	v_mul_f32_e32 v31, v59, v95
	s_waitcnt lgkmcnt(2)
	v_mul_f32_e32 v30, v57, v77
	v_fmac_f32_e32 v91, v6, v49
	v_fmac_f32_e32 v54, v4, v51
	v_mul_f32_e32 v4, v56, v77
	v_mul_f32_e32 v6, v58, v95
	s_waitcnt vmcnt(6)
	v_mul_f32_e32 v44, v63, v68
	v_mul_f32_e32 v45, v61, v90
	v_fma_f32 v58, v10, v58, -v31
	v_fma_f32 v56, v12, v56, -v30
	v_fmac_f32_e32 v4, v12, v57
	v_fmac_f32_e32 v6, v10, v59
	v_mul_f32_e32 v10, v60, v90
	v_mul_f32_e32 v12, v62, v68
	v_fma_f32 v57, v23, v62, -v44
	v_fma_f32 v59, v27, v60, -v45
	s_waitcnt vmcnt(5) lgkmcnt(1)
	v_mul_f32_e32 v60, v69, v84
	v_fmac_f32_e32 v10, v27, v61
	v_fmac_f32_e32 v12, v23, v63
	v_mul_f32_e32 v23, v72, v88
	v_mul_f32_e32 v27, v70, v84
	;; [unrolled: 1-line block ×3, first 2 shown]
	v_fmac_f32_e32 v60, v19, v70
	v_add_co_u32 v52, vcc_lo, 0xfc0, v2
	v_fma_f32 v62, v21, v71, -v23
	v_fma_f32 v63, v19, v69, -v27
	v_fmac_f32_e32 v61, v21, v72
	s_waitcnt vmcnt(4) lgkmcnt(0)
	v_mul_f32_e32 v19, v64, v29
	v_mul_f32_e32 v21, v65, v29
	v_add_co_ci_u32_e32 v53, vcc_lo, 0, v101, vcc_lo
	v_add_co_u32 v30, vcc_lo, 0x800, v2
	v_add_co_ci_u32_e32 v31, vcc_lo, 0, v101, vcc_lo
	v_fmac_f32_e32 v19, v25, v65
	v_fma_f32 v64, v25, v64, -v21
	s_waitcnt vmcnt(3)
	v_mul_f32_e32 v21, v76, v67
	v_mul_f32_e32 v65, v75, v67
	s_waitcnt vmcnt(2)
	v_mul_f32_e32 v67, v81, v28
	v_mul_f32_e32 v23, v82, v28
	global_load_dwordx4 v[27:30], v[30:31], off offset:1984
	v_fma_f32 v69, v22, v75, -v21
	v_fmac_f32_e32 v65, v22, v76
	s_clause 0x2
	global_load_dwordx4 v[44:47], v[52:53], off offset:32
	global_load_dwordx4 v[48:51], v[52:53], off offset:16
	global_load_dwordx2 v[21:22], v[52:53], off offset:48
	v_fmac_f32_e32 v67, v24, v82
	v_fma_f32 v52, v24, v81, -v23
	v_mad_u64_u32 v[23:24], null, s0, v1, 0
	v_mul_f32_e32 v2, v74, v89
	v_mul_f32_e32 v68, v73, v89
	v_sub_f32_e32 v71, v55, v56
	v_sub_f32_e32 v19, v103, v19
	;; [unrolled: 1-line block ×3, first 2 shown]
	v_fma_f32 v31, v26, v73, -v2
	v_mov_b32_e32 v2, v24
	v_fmac_f32_e32 v68, v26, v74
	v_sub_f32_e32 v73, v91, v4
	v_sub_f32_e32 v74, v37, v8
	;; [unrolled: 1-line block ×3, first 2 shown]
	v_mad_u64_u32 v[1:2], null, s1, v1, v[2:3]
	ds_read2st64_b32 v[25:26], v33 offset0:56 offset1:58
	ds_read_b32 v2, v34
	ds_read_b32 v33, v36
	;; [unrolled: 1-line block ×4, first 2 shown]
	v_sub_f32_e32 v6, v57, v62
	v_sub_f32_e32 v60, v10, v60
	;; [unrolled: 1-line block ×4, first 2 shown]
	v_mov_b32_e32 v24, v1
	v_fma_f32 v84, v54, 2.0, -v4
	v_fma_f32 v10, v10, 2.0, -v60
	v_sub_f32_e32 v67, v105, v67
	v_sub_f32_e32 v52, v106, v52
	;; [unrolled: 1-line block ×3, first 2 shown]
	s_load_dwordx2 s[0:1], s[4:5], 0x58
	v_fma_f32 v37, v37, 2.0, -v74
	s_waitcnt vmcnt(5) lgkmcnt(0)
	v_mul_f32_e32 v1, v79, v25
	v_mul_f32_e32 v25, v80, v25
	v_sub_f32_e32 v8, v33, v102
	v_sub_f32_e32 v70, v2, v108
	v_fmac_f32_e32 v1, v16, v80
	v_fma_f32 v16, v16, v79, -v25
	v_add_f32_e32 v54, v6, v8
	v_fma_f32 v33, v33, 2.0, -v8
	v_fma_f32 v6, v57, 2.0, -v6
	v_sub_f32_e32 v72, v109, v1
	v_sub_f32_e32 v1, v14, v16
	;; [unrolled: 1-line block ×5, first 2 shown]
	v_fma_f32 v2, v2, 2.0, -v70
	v_fma_f32 v88, v14, 2.0, -v1
	v_add_f32_e32 v14, v60, v56
	v_fma_f32 v59, v59, 2.0, -v16
	v_fma_f32 v56, v86, 2.0, -v56
	v_fma_f32 v86, v0, 2.0, -v62
	v_add_f32_e32 v82, v73, v1
	v_fmamk_f32 v1, v14, 0x3f3504f3, v54
	v_fma_f32 v32, v32, 2.0, -v57
	v_fma_f32 v39, v39, 2.0, -v85
	v_add_f32_e32 v80, v58, v70
	v_fma_f32 v58, v93, 2.0, -v58
	v_sub_f32_e32 v81, v71, v72
	s_waitcnt vmcnt(4)
	v_mul_f32_e32 v25, v43, v87
	v_mul_f32_e32 v35, v41, v83
	;; [unrolled: 1-line block ×4, first 2 shown]
	v_sub_f32_e32 v83, v74, v4
	v_fma_f32 v25, v20, v42, -v25
	v_fma_f32 v35, v18, v40, -v35
	v_fmac_f32_e32 v36, v18, v41
	v_fmac_f32_e32 v53, v20, v43
	v_fma_f32 v87, v55, 2.0, -v71
	v_sub_f32_e32 v4, v16, v19
	v_sub_f32_e32 v55, v62, v61
	v_fma_f32 v61, v12, 2.0, -v61
	v_fma_f32 v19, v103, 2.0, -v19
	v_sub_f32_e32 v25, v69, v25
	v_sub_f32_e32 v35, v31, v35
	;; [unrolled: 1-line block ×4, first 2 shown]
	v_fmamk_f32 v0, v4, 0x3f3504f3, v55
	v_fma_f32 v16, v16, 2.0, -v4
	v_fma_f32 v31, v31, 2.0, -v35
	v_fmac_f32_e32 v1, 0x3f3504f3, v4
	v_fmamk_f32 v12, v81, 0x3f3504f3, v83
	v_fmac_f32_e32 v0, 0xbf3504f3, v14
	v_fmac_f32_e32 v12, 0xbf3504f3, v82
	s_waitcnt vmcnt(3)
	v_mul_f32_e32 v18, v30, v94
	s_waitcnt vmcnt(2)
	v_mul_f32_e32 v20, v47, v96
	;; [unrolled: 2-line block ×3, first 2 shown]
	v_mul_f32_e32 v41, v28, v92
	v_mul_f32_e32 v42, v45, v78
	;; [unrolled: 1-line block ×3, first 2 shown]
	s_waitcnt vmcnt(0)
	v_mul_f32_e32 v63, v21, v26
	v_mul_f32_e32 v64, v49, v100
	;; [unrolled: 1-line block ×8, first 2 shown]
	v_fma_f32 v18, v5, v29, -v18
	v_fma_f32 v20, v11, v46, -v20
	v_fmac_f32_e32 v40, v9, v51
	v_fma_f32 v27, v7, v27, -v41
	v_fma_f32 v29, v13, v44, -v42
	v_fmac_f32_e32 v43, v15, v49
	v_fmac_f32_e32 v63, v17, v22
	v_fma_f32 v22, v15, v48, -v64
	v_fma_f32 v15, v17, v21, -v26
	v_fmac_f32_e32 v75, v7, v28
	v_fmac_f32_e32 v76, v13, v45
	v_fma_f32 v7, v9, v50, -v77
	v_fmac_f32_e32 v78, v5, v30
	v_fmac_f32_e32 v79, v11, v47
	v_sub_f32_e32 v11, v33, v61
	v_sub_f32_e32 v9, v59, v56
	;; [unrolled: 1-line block ×4, first 2 shown]
	v_fma_f32 v30, v8, 2.0, -v54
	v_fma_f32 v26, v60, 2.0, -v14
	;; [unrolled: 1-line block ×3, first 2 shown]
	v_add_f32_e32 v42, v25, v57
	v_sub_f32_e32 v28, v35, v67
	v_add_f32_e32 v44, v36, v52
	v_fma_f32 v8, v65, 2.0, -v53
	v_fma_f32 v19, v106, 2.0, -v52
	;; [unrolled: 1-line block ×5, first 2 shown]
	v_sub_f32_e32 v20, v18, v20
	v_sub_f32_e32 v40, v34, v40
	;; [unrolled: 1-line block ×9, first 2 shown]
	v_add_f32_e32 v5, v11, v9
	v_fmamk_f32 v7, v26, 0xbf3504f3, v30
	v_fmamk_f32 v6, v16, 0xbf3504f3, v41
	v_fma_f32 v33, v33, 2.0, -v11
	v_fma_f32 v10, v10, 2.0, -v17
	;; [unrolled: 1-line block ×4, first 2 shown]
	v_sub_f32_e32 v59, v32, v8
	v_sub_f32_e32 v60, v31, v19
	;; [unrolled: 1-line block ×4, first 2 shown]
	v_fma_f32 v62, v35, 2.0, -v28
	v_add_f32_e32 v65, v20, v40
	v_add_f32_e32 v68, v50, v49
	v_sub_f32_e32 v69, v51, v52
	v_fma_f32 v76, v34, 2.0, -v40
	v_fma_f32 v34, v78, 2.0, -v52
	;; [unrolled: 1-line block ×6, first 2 shown]
	v_sub_f32_e32 v4, v21, v17
	v_fmamk_f32 v15, v44, 0x3f3504f3, v42
	v_fmamk_f32 v14, v28, 0x3f3504f3, v45
	v_fma_f32 v63, v36, 2.0, -v44
	v_sub_f32_e32 v67, v29, v48
	v_fma_f32 v75, v75, 2.0, -v50
	v_fma_f32 v36, v43, 2.0, -v48
	;; [unrolled: 1-line block ×5, first 2 shown]
	v_fmac_f32_e32 v7, 0x3f3504f3, v16
	v_fmac_f32_e32 v6, 0xbf3504f3, v26
	v_sub_f32_e32 v11, v33, v10
	v_sub_f32_e32 v10, v53, v56
	v_sub_f32_e32 v20, v61, v47
	v_fma_f32 v16, v32, 2.0, -v59
	v_fma_f32 v38, v46, 2.0, -v47
	;; [unrolled: 1-line block ×4, first 2 shown]
	v_sub_f32_e32 v54, v76, v34
	v_sub_f32_e32 v22, v52, v22
	;; [unrolled: 1-line block ×3, first 2 shown]
	v_fma_f32 v56, v40, 2.0, -v65
	v_fma_f32 v50, v50, 2.0, -v68
	;; [unrolled: 1-line block ×4, first 2 shown]
	v_fmac_f32_e32 v15, 0x3f3504f3, v28
	v_fmac_f32_e32 v14, 0xbf3504f3, v44
	v_add_f32_e32 v21, v59, v60
	v_sub_f32_e32 v44, v75, v36
	v_fma_f32 v60, v29, 2.0, -v67
	v_fma_f32 v77, v51, 2.0, -v69
	;; [unrolled: 1-line block ×4, first 2 shown]
	v_sub_f32_e32 v39, v16, v38
	v_sub_f32_e32 v38, v46, v43
	v_add_f32_e32 v41, v54, v22
	v_fmamk_f32 v43, v50, 0xbf3504f3, v56
	v_fma_f32 v61, v49, 2.0, -v55
	v_fma_f32 v22, v52, 2.0, -v22
	v_fma_f32 v57, v57, 2.0, -v42
	v_fmamk_f32 v25, v62, 0xbf3504f3, v64
	v_fmamk_f32 v27, v67, 0x3f3504f3, v69
	v_fma_f32 v34, v42, 2.0, -v15
	v_sub_f32_e32 v40, v55, v44
	v_fmamk_f32 v42, v60, 0xbf3504f3, v77
	v_fmac_f32_e32 v43, 0x3f3504f3, v60
	v_sub_f32_e32 v52, v61, v22
	v_fmamk_f32 v26, v63, 0xbf3504f3, v57
	v_fma_f32 v31, v53, 2.0, -v10
	v_fma_f32 v36, v59, 2.0, -v21
	v_fma_f32 v59, v76, 2.0, -v54
	v_fma_f32 v53, v75, 2.0, -v44
	v_fmamk_f32 v28, v68, 0x3f3504f3, v65
	v_fmac_f32_e32 v25, 0xbf3504f3, v63
	v_fmac_f32_e32 v27, 0xbf3504f3, v68
	;; [unrolled: 1-line block ×3, first 2 shown]
	v_fma_f32 v50, v55, 2.0, -v40
	v_fma_f32 v55, v56, 2.0, -v43
	;; [unrolled: 1-line block ×5, first 2 shown]
	v_fmac_f32_e32 v26, 0x3f3504f3, v62
	v_sub_f32_e32 v53, v59, v53
	v_sub_f32_e32 v22, v2, v84
	;; [unrolled: 1-line block ×3, first 2 shown]
	v_fmac_f32_e32 v28, 0x3f3504f3, v67
	v_fma_f32 v44, v64, 2.0, -v25
	v_fma_f32 v48, v69, 2.0, -v27
	;; [unrolled: 1-line block ×4, first 2 shown]
	v_sub_f32_e32 v70, v37, v58
	v_sub_f32_e32 v58, v60, v61
	v_fma_f32 v32, v33, 2.0, -v11
	v_fma_f32 v33, v45, 2.0, -v14
	;; [unrolled: 1-line block ×4, first 2 shown]
	v_add_f32_e32 v59, v22, v62
	v_fma_f32 v49, v65, 2.0, -v28
	v_fma_f32 v65, v71, 2.0, -v81
	v_fmamk_f32 v61, v64, 0xbf3504f3, v69
	v_fma_f32 v71, v74, 2.0, -v83
	v_fma_f32 v2, v2, 2.0, -v22
	;; [unrolled: 1-line block ×4, first 2 shown]
	v_lshlrev_b64 v[22:23], 3, v[23:24]
	v_fmac_f32_e32 v61, 0x3f3504f3, v65
	v_fmamk_f32 v60, v65, 0xbf3504f3, v71
	v_sub_f32_e32 v65, v2, v67
	v_lshlrev_b32_e32 v67, 3, v66
	v_fma_f32 v37, v37, 2.0, -v70
	v_fma_f32 v62, v87, 2.0, -v62
	v_add_co_u32 v75, vcc_lo, s0, v22
	v_fma_f32 v24, v2, 2.0, -v65
	v_and_b32_e32 v2, 0xff8, v67
	v_fmac_f32_e32 v60, 0xbf3504f3, v64
	v_sub_f32_e32 v64, v37, v62
	v_add_co_ci_u32_e32 v76, vcc_lo, s1, v23, vcc_lo
	v_add_co_u32 v67, vcc_lo, v75, v2
	v_fma_f32 v23, v37, 2.0, -v64
	v_add_co_ci_u32_e32 v68, vcc_lo, 0, v76, vcc_lo
	v_or_b32_e32 v22, 0x1000, v2
	v_fmamk_f32 v13, v82, 0x3f3504f3, v80
	v_sub_f32_e32 v58, v70, v58
	global_store_dwordx2 v[67:68], v[23:24], off
	v_or_b32_e32 v24, 0x2000, v2
	v_add_co_u32 v22, vcc_lo, v75, v22
	v_or_b32_e32 v37, 0x3000, v2
	v_add_co_ci_u32_e32 v23, vcc_lo, 0, v76, vcc_lo
	v_add_co_u32 v67, vcc_lo, v75, v24
	v_or_b32_e32 v24, 0x4000, v2
	v_fmac_f32_e32 v13, 0x3f3504f3, v81
	v_fma_f32 v62, v70, 2.0, -v58
	v_fma_f32 v70, v69, 2.0, -v61
	;; [unrolled: 1-line block ×3, first 2 shown]
	v_add_co_ci_u32_e32 v68, vcc_lo, 0, v76, vcc_lo
	v_add_co_u32 v71, vcc_lo, v75, v37
	v_add_co_ci_u32_e32 v72, vcc_lo, 0, v76, vcc_lo
	v_add_co_u32 v73, vcc_lo, v75, v24
	v_fma_f32 v17, v80, 2.0, -v13
	v_fma_f32 v47, v16, 2.0, -v39
	;; [unrolled: 1-line block ×3, first 2 shown]
	global_store_dwordx2 v[22:23], v[69:70], off
	global_store_dwordx2 v[67:68], v[62:63], off
	v_or_b32_e32 v22, 0x5000, v2
	v_add_nc_u32_e32 v23, 0x80, v66
	v_add_co_ci_u32_e32 v74, vcc_lo, 0, v76, vcc_lo
	global_store_dwordx2 v[71:72], v[16:17], off
	global_store_dwordx2 v[73:74], v[64:65], off
	v_add_co_u32 v16, vcc_lo, v75, v22
	v_or_b32_e32 v22, 0x6000, v2
	v_or_b32_e32 v24, 0x7000, v2
	v_lshlrev_b32_e32 v2, 3, v23
	v_and_b32_e32 v37, 0x1ff, v23
	v_add_co_ci_u32_e32 v17, vcc_lo, 0, v76, vcc_lo
	v_add_co_u32 v22, vcc_lo, v75, v22
	v_and_or_b32 v2, 0xfffff000, v2, v37
	v_add_co_ci_u32_e32 v23, vcc_lo, 0, v76, vcc_lo
	v_add_co_u32 v62, vcc_lo, v75, v24
	v_add_co_ci_u32_e32 v63, vcc_lo, 0, v76, vcc_lo
	v_or_b32_e32 v64, 0x200, v2
	v_mov_b32_e32 v65, v3
	global_store_dwordx2 v[16:17], v[60:61], off
	global_store_dwordx2 v[22:23], v[58:59], off
	v_lshlrev_b64 v[16:17], 3, v[2:3]
	v_or_b32_e32 v22, 0x400, v2
	v_mov_b32_e32 v23, v3
	global_store_dwordx2 v[62:63], v[12:13], off
	v_lshlrev_b64 v[12:13], 3, v[64:65]
	v_or_b32_e32 v58, 0x600, v2
	v_add_co_u32 v16, vcc_lo, v75, v16
	v_lshlrev_b64 v[22:23], 3, v[22:23]
	v_add_co_ci_u32_e32 v17, vcc_lo, v76, v17, vcc_lo
	v_add_co_u32 v12, vcc_lo, v75, v12
	v_add_co_ci_u32_e32 v13, vcc_lo, v76, v13, vcc_lo
	v_add_co_u32 v22, vcc_lo, v75, v22
	v_mov_b32_e32 v59, v3
	v_fma_f32 v51, v54, 2.0, -v41
	v_fma_f32 v54, v77, 2.0, -v42
	v_add_co_ci_u32_e32 v23, vcc_lo, v76, v23, vcc_lo
	v_or_b32_e32 v60, 0x800, v2
	v_mov_b32_e32 v61, v3
	global_store_dwordx2 v[16:17], v[56:57], off
	global_store_dwordx2 v[12:13], v[54:55], off
	v_lshlrev_b64 v[12:13], 3, v[58:59]
	global_store_dwordx2 v[22:23], v[50:51], off
	v_or_b32_e32 v22, 0xa00, v2
	v_mov_b32_e32 v23, v3
	v_lshlrev_b64 v[16:17], 3, v[60:61]
	v_or_b32_e32 v50, 0xc00, v2
	v_mov_b32_e32 v51, v3
	v_add_nc_u32_e32 v24, 0x100, v66
	v_add_co_u32 v12, vcc_lo, v75, v12
	v_lshlrev_b64 v[22:23], 3, v[22:23]
	v_add_co_ci_u32_e32 v13, vcc_lo, v76, v13, vcc_lo
	v_add_co_u32 v16, vcc_lo, v75, v16
	v_lshlrev_b64 v[50:51], 3, v[50:51]
	v_or_b32_e32 v2, 0xe00, v2
	v_lshlrev_b32_e32 v37, 3, v24
	v_and_b32_e32 v24, 0x1ff, v24
	v_add_co_ci_u32_e32 v17, vcc_lo, v76, v17, vcc_lo
	v_add_co_u32 v22, vcc_lo, v75, v22
	v_add_co_ci_u32_e32 v23, vcc_lo, v76, v23, vcc_lo
	v_lshlrev_b64 v[54:55], 3, v[2:3]
	v_and_or_b32 v2, 0xfffff000, v37, v24
	v_add_co_u32 v50, vcc_lo, v75, v50
	v_add_co_ci_u32_e32 v51, vcc_lo, v76, v51, vcc_lo
	global_store_dwordx2 v[12:13], v[48:49], off
	global_store_dwordx2 v[16:17], v[52:53], off
	;; [unrolled: 1-line block ×4, first 2 shown]
	v_or_b32_e32 v16, 0x200, v2
	v_mov_b32_e32 v17, v3
	v_lshlrev_b64 v[12:13], 3, v[2:3]
	v_add_co_u32 v22, vcc_lo, v75, v54
	v_add_co_ci_u32_e32 v23, vcc_lo, v76, v55, vcc_lo
	v_lshlrev_b64 v[16:17], 3, v[16:17]
	v_add_co_u32 v12, vcc_lo, v75, v12
	v_add_co_ci_u32_e32 v13, vcc_lo, v76, v13, vcc_lo
	v_or_b32_e32 v40, 0x400, v2
	v_mov_b32_e32 v41, v3
	v_fma_f32 v46, v46, 2.0, -v38
	v_add_co_u32 v16, vcc_lo, v75, v16
	v_add_co_ci_u32_e32 v17, vcc_lo, v76, v17, vcc_lo
	v_or_b32_e32 v42, 0x600, v2
	v_mov_b32_e32 v43, v3
	global_store_dwordx2 v[22:23], v[27:28], off
	global_store_dwordx2 v[12:13], v[46:47], off
	v_lshlrev_b64 v[12:13], 3, v[40:41]
	v_or_b32_e32 v22, 0x800, v2
	v_mov_b32_e32 v23, v3
	global_store_dwordx2 v[16:17], v[44:45], off
	v_lshlrev_b64 v[16:17], 3, v[42:43]
	v_or_b32_e32 v27, 0xa00, v2
	v_add_co_u32 v12, vcc_lo, v75, v12
	v_lshlrev_b64 v[22:23], 3, v[22:23]
	v_add_co_ci_u32_e32 v13, vcc_lo, v76, v13, vcc_lo
	v_add_co_u32 v16, vcc_lo, v75, v16
	v_mov_b32_e32 v28, v3
	v_add_co_ci_u32_e32 v17, vcc_lo, v76, v17, vcc_lo
	v_add_co_u32 v22, vcc_lo, v75, v22
	v_or_b32_e32 v40, 0xc00, v2
	v_add_co_ci_u32_e32 v23, vcc_lo, v76, v23, vcc_lo
	v_or_b32_e32 v2, 0xe00, v2
	v_add_nc_u32_e32 v24, 0x180, v66
	global_store_dwordx2 v[12:13], v[35:36], off
	global_store_dwordx2 v[16:17], v[33:34], off
	v_lshlrev_b64 v[12:13], 3, v[27:28]
	v_lshlrev_b64 v[16:17], 3, v[40:41]
	global_store_dwordx2 v[22:23], v[38:39], off
	v_lshlrev_b64 v[22:23], 3, v[2:3]
	v_lshlrev_b32_e32 v2, 3, v24
	v_and_b32_e32 v24, 0x1ff, v24
	v_add_co_u32 v12, vcc_lo, v75, v12
	v_add_co_ci_u32_e32 v13, vcc_lo, v76, v13, vcc_lo
	v_add_co_u32 v16, vcc_lo, v75, v16
	v_and_or_b32 v2, 0xfffff000, v2, v24
	v_add_co_ci_u32_e32 v17, vcc_lo, v76, v17, vcc_lo
	v_add_co_u32 v22, vcc_lo, v75, v22
	v_add_co_ci_u32_e32 v23, vcc_lo, v76, v23, vcc_lo
	v_or_b32_e32 v27, 0x200, v2
	global_store_dwordx2 v[12:13], v[25:26], off
	global_store_dwordx2 v[16:17], v[20:21], off
	v_lshlrev_b64 v[12:13], 3, v[2:3]
	v_or_b32_e32 v16, 0x400, v2
	v_mov_b32_e32 v17, v3
	global_store_dwordx2 v[22:23], v[14:15], off
	v_lshlrev_b64 v[14:15], 3, v[27:28]
	v_or_b32_e32 v20, 0x600, v2
	v_add_co_u32 v12, vcc_lo, v75, v12
	v_lshlrev_b64 v[16:17], 3, v[16:17]
	v_add_co_ci_u32_e32 v13, vcc_lo, v76, v13, vcc_lo
	v_add_co_u32 v14, vcc_lo, v75, v14
	v_add_co_ci_u32_e32 v15, vcc_lo, v76, v15, vcc_lo
	v_add_co_u32 v16, vcc_lo, v75, v16
	v_mov_b32_e32 v21, v3
	v_fma_f32 v30, v30, 2.0, -v7
	v_add_co_ci_u32_e32 v17, vcc_lo, v76, v17, vcc_lo
	v_or_b32_e32 v22, 0x800, v2
	v_mov_b32_e32 v23, v3
	global_store_dwordx2 v[12:13], v[31:32], off
	global_store_dwordx2 v[14:15], v[29:30], off
	v_lshlrev_b64 v[12:13], 3, v[20:21]
	global_store_dwordx2 v[16:17], v[18:19], off
	v_or_b32_e32 v16, 0xa00, v2
	v_mov_b32_e32 v17, v3
	v_lshlrev_b64 v[14:15], 3, v[22:23]
	v_or_b32_e32 v18, 0xc00, v2
	v_mov_b32_e32 v19, v3
	v_add_co_u32 v12, vcc_lo, v75, v12
	v_lshlrev_b64 v[16:17], 3, v[16:17]
	v_or_b32_e32 v2, 0xe00, v2
	v_add_co_ci_u32_e32 v13, vcc_lo, v76, v13, vcc_lo
	v_add_co_u32 v14, vcc_lo, v75, v14
	v_lshlrev_b64 v[18:19], 3, v[18:19]
	v_add_co_ci_u32_e32 v15, vcc_lo, v76, v15, vcc_lo
	v_add_co_u32 v16, vcc_lo, v75, v16
	v_lshlrev_b64 v[2:3], 3, v[2:3]
	v_add_co_ci_u32_e32 v17, vcc_lo, v76, v17, vcc_lo
	v_add_co_u32 v18, vcc_lo, v75, v18
	v_add_co_ci_u32_e32 v19, vcc_lo, v76, v19, vcc_lo
	v_add_co_u32 v2, vcc_lo, v75, v2
	v_add_co_ci_u32_e32 v3, vcc_lo, v76, v3, vcc_lo
	global_store_dwordx2 v[12:13], v[8:9], off
	global_store_dwordx2 v[14:15], v[10:11], off
	;; [unrolled: 1-line block ×5, first 2 shown]
.LBB0_6:
	s_endpgm
	.section	.rodata,"a",@progbits
	.p2align	6, 0x0
	.amdhsa_kernel fft_rtc_fwd_len4096_factors_8_16_4_8_wgs_256_tpt_128_halfLds_dim1_sp_op_CI_CI_unitstride_sbrr_dirReg
		.amdhsa_group_segment_fixed_size 0
		.amdhsa_private_segment_fixed_size 0
		.amdhsa_kernarg_size 96
		.amdhsa_user_sgpr_count 6
		.amdhsa_user_sgpr_private_segment_buffer 1
		.amdhsa_user_sgpr_dispatch_ptr 0
		.amdhsa_user_sgpr_queue_ptr 0
		.amdhsa_user_sgpr_kernarg_segment_ptr 1
		.amdhsa_user_sgpr_dispatch_id 0
		.amdhsa_user_sgpr_flat_scratch_init 0
		.amdhsa_user_sgpr_private_segment_size 0
		.amdhsa_wavefront_size32 1
		.amdhsa_uses_dynamic_stack 0
		.amdhsa_system_sgpr_private_segment_wavefront_offset 0
		.amdhsa_system_sgpr_workgroup_id_x 1
		.amdhsa_system_sgpr_workgroup_id_y 0
		.amdhsa_system_sgpr_workgroup_id_z 0
		.amdhsa_system_sgpr_workgroup_info 0
		.amdhsa_system_vgpr_workitem_id 0
		.amdhsa_next_free_vgpr 129
		.amdhsa_next_free_sgpr 12
		.amdhsa_reserve_vcc 1
		.amdhsa_reserve_flat_scratch 0
		.amdhsa_float_round_mode_32 0
		.amdhsa_float_round_mode_16_64 0
		.amdhsa_float_denorm_mode_32 3
		.amdhsa_float_denorm_mode_16_64 3
		.amdhsa_dx10_clamp 1
		.amdhsa_ieee_mode 1
		.amdhsa_fp16_overflow 0
		.amdhsa_workgroup_processor_mode 1
		.amdhsa_memory_ordered 1
		.amdhsa_forward_progress 0
		.amdhsa_shared_vgpr_count 0
		.amdhsa_exception_fp_ieee_invalid_op 0
		.amdhsa_exception_fp_denorm_src 0
		.amdhsa_exception_fp_ieee_div_zero 0
		.amdhsa_exception_fp_ieee_overflow 0
		.amdhsa_exception_fp_ieee_underflow 0
		.amdhsa_exception_fp_ieee_inexact 0
		.amdhsa_exception_int_div_zero 0
	.end_amdhsa_kernel
	.text
.Lfunc_end0:
	.size	fft_rtc_fwd_len4096_factors_8_16_4_8_wgs_256_tpt_128_halfLds_dim1_sp_op_CI_CI_unitstride_sbrr_dirReg, .Lfunc_end0-fft_rtc_fwd_len4096_factors_8_16_4_8_wgs_256_tpt_128_halfLds_dim1_sp_op_CI_CI_unitstride_sbrr_dirReg
                                        ; -- End function
	.section	.AMDGPU.csdata,"",@progbits
; Kernel info:
; codeLenInByte = 13132
; NumSgprs: 14
; NumVgprs: 129
; ScratchSize: 0
; MemoryBound: 0
; FloatMode: 240
; IeeeMode: 1
; LDSByteSize: 0 bytes/workgroup (compile time only)
; SGPRBlocks: 1
; VGPRBlocks: 16
; NumSGPRsForWavesPerEU: 14
; NumVGPRsForWavesPerEU: 129
; Occupancy: 7
; WaveLimiterHint : 1
; COMPUTE_PGM_RSRC2:SCRATCH_EN: 0
; COMPUTE_PGM_RSRC2:USER_SGPR: 6
; COMPUTE_PGM_RSRC2:TRAP_HANDLER: 0
; COMPUTE_PGM_RSRC2:TGID_X_EN: 1
; COMPUTE_PGM_RSRC2:TGID_Y_EN: 0
; COMPUTE_PGM_RSRC2:TGID_Z_EN: 0
; COMPUTE_PGM_RSRC2:TIDIG_COMP_CNT: 0
	.text
	.p2alignl 6, 3214868480
	.fill 48, 4, 3214868480
	.type	__hip_cuid_86249b9be17cecc5,@object ; @__hip_cuid_86249b9be17cecc5
	.section	.bss,"aw",@nobits
	.globl	__hip_cuid_86249b9be17cecc5
__hip_cuid_86249b9be17cecc5:
	.byte	0                               ; 0x0
	.size	__hip_cuid_86249b9be17cecc5, 1

	.ident	"AMD clang version 19.0.0git (https://github.com/RadeonOpenCompute/llvm-project roc-6.4.0 25133 c7fe45cf4b819c5991fe208aaa96edf142730f1d)"
	.section	".note.GNU-stack","",@progbits
	.addrsig
	.addrsig_sym __hip_cuid_86249b9be17cecc5
	.amdgpu_metadata
---
amdhsa.kernels:
  - .args:
      - .actual_access:  read_only
        .address_space:  global
        .offset:         0
        .size:           8
        .value_kind:     global_buffer
      - .actual_access:  read_only
        .address_space:  global
        .offset:         8
        .size:           8
        .value_kind:     global_buffer
      - .actual_access:  read_only
        .address_space:  global
        .offset:         16
        .size:           8
        .value_kind:     global_buffer
      - .actual_access:  read_only
        .address_space:  global
        .offset:         24
        .size:           8
        .value_kind:     global_buffer
      - .offset:         32
        .size:           8
        .value_kind:     by_value
      - .actual_access:  read_only
        .address_space:  global
        .offset:         40
        .size:           8
        .value_kind:     global_buffer
      - .actual_access:  read_only
        .address_space:  global
        .offset:         48
        .size:           8
        .value_kind:     global_buffer
      - .offset:         56
        .size:           4
        .value_kind:     by_value
      - .actual_access:  read_only
        .address_space:  global
        .offset:         64
        .size:           8
        .value_kind:     global_buffer
      - .actual_access:  read_only
        .address_space:  global
        .offset:         72
        .size:           8
        .value_kind:     global_buffer
      - .actual_access:  read_only
        .address_space:  global
        .offset:         80
        .size:           8
        .value_kind:     global_buffer
      - .actual_access:  write_only
        .address_space:  global
        .offset:         88
        .size:           8
        .value_kind:     global_buffer
    .group_segment_fixed_size: 0
    .kernarg_segment_align: 8
    .kernarg_segment_size: 96
    .language:       OpenCL C
    .language_version:
      - 2
      - 0
    .max_flat_workgroup_size: 256
    .name:           fft_rtc_fwd_len4096_factors_8_16_4_8_wgs_256_tpt_128_halfLds_dim1_sp_op_CI_CI_unitstride_sbrr_dirReg
    .private_segment_fixed_size: 0
    .sgpr_count:     14
    .sgpr_spill_count: 0
    .symbol:         fft_rtc_fwd_len4096_factors_8_16_4_8_wgs_256_tpt_128_halfLds_dim1_sp_op_CI_CI_unitstride_sbrr_dirReg.kd
    .uniform_work_group_size: 1
    .uses_dynamic_stack: false
    .vgpr_count:     129
    .vgpr_spill_count: 0
    .wavefront_size: 32
    .workgroup_processor_mode: 1
amdhsa.target:   amdgcn-amd-amdhsa--gfx1030
amdhsa.version:
  - 1
  - 2
...

	.end_amdgpu_metadata
